;; amdgpu-corpus repo=ROCm/rocFFT kind=compiled arch=gfx1030 opt=O3
	.text
	.amdgcn_target "amdgcn-amd-amdhsa--gfx1030"
	.amdhsa_code_object_version 6
	.protected	bluestein_single_fwd_len840_dim1_half_op_CI_CI ; -- Begin function bluestein_single_fwd_len840_dim1_half_op_CI_CI
	.globl	bluestein_single_fwd_len840_dim1_half_op_CI_CI
	.p2align	8
	.type	bluestein_single_fwd_len840_dim1_half_op_CI_CI,@function
bluestein_single_fwd_len840_dim1_half_op_CI_CI: ; @bluestein_single_fwd_len840_dim1_half_op_CI_CI
; %bb.0:
	s_load_dwordx4 s[8:11], s[4:5], 0x28
	v_mul_u32_u24_e32 v1, 0x493, v0
	v_mov_b32_e32 v29, 0
	s_mov_b32 s0, exec_lo
	v_lshrrev_b32_e32 v1, 16, v1
	v_add_nc_u32_e32 v28, s6, v1
	s_waitcnt lgkmcnt(0)
	v_cmpx_gt_u64_e64 s[8:9], v[28:29]
	s_cbranch_execz .LBB0_39
; %bb.1:
	s_clause 0x1
	s_load_dwordx4 s[0:3], s[4:5], 0x18
	s_load_dwordx2 s[6:7], s[4:5], 0x0
	v_mul_lo_u16 v1, v1, 56
	v_sub_nc_u16 v7, v0, v1
	v_and_b32_e32 v69, 0xffff, v7
	v_lshlrev_b32_e32 v57, 2, v69
	s_waitcnt lgkmcnt(0)
	s_load_dwordx4 s[12:15], s[0:1], 0x0
	s_clause 0x1
	global_load_dword v72, v57, s[6:7]
	global_load_dword v70, v57, s[6:7] offset:1680
	v_add_co_u32 v26, s0, s6, v57
	v_add_co_ci_u32_e64 v27, null, s7, 0, s0
	v_add_nc_u32_e32 v12, 0x800, v57
	s_waitcnt lgkmcnt(0)
	v_mad_u64_u32 v[0:1], null, s14, v28, 0
	v_mad_u64_u32 v[2:3], null, s12, v69, 0
	s_mul_i32 s1, s13, 0x1a4
	s_mul_hi_u32 s9, s12, 0x1a4
	s_mul_i32 s0, s12, 0x1a4
	s_mul_i32 s14, s13, 0xfffffe94
	s_add_i32 s1, s9, s1
	s_mul_i32 s8, s12, 0xfffffe94
	v_mad_u64_u32 v[4:5], null, s15, v28, v[1:2]
	v_mad_u64_u32 v[5:6], null, s13, v69, v[3:4]
	v_mov_b32_e32 v1, v4
	s_mul_hi_u32 s13, s12, 0xfffffe94
	v_add_nc_u32_e32 v4, 0x600, v57
	s_sub_i32 s9, s13, s12
	s_lshl_b64 s[12:13], s[0:1], 2
	v_lshlrev_b64 v[0:1], 2, v[0:1]
	v_mov_b32_e32 v3, v5
	s_add_i32 s9, s9, s14
	s_lshl_b64 s[0:1], s[8:9], 2
	v_lshlrev_b64 v[2:3], 2, v[2:3]
	v_add_co_u32 v0, vcc_lo, s10, v0
	v_add_co_ci_u32_e32 v1, vcc_lo, s11, v1, vcc_lo
	v_add_co_u32 v0, vcc_lo, v0, v2
	v_add_co_ci_u32_e32 v1, vcc_lo, v1, v3, vcc_lo
	;; [unrolled: 2-line block ×3, first 2 shown]
	s_clause 0x1
	global_load_dword v5, v[0:1], off
	global_load_dword v6, v[2:3], off
	v_add_co_u32 v0, vcc_lo, v2, s0
	v_add_co_ci_u32_e32 v1, vcc_lo, s1, v3, vcc_lo
	v_add_co_u32 v2, vcc_lo, v0, s12
	v_add_co_ci_u32_e32 v3, vcc_lo, s13, v1, vcc_lo
	global_load_dword v8, v[0:1], off
	v_add_co_u32 v0, vcc_lo, v2, s0
	v_add_co_ci_u32_e32 v1, vcc_lo, s1, v3, vcc_lo
	s_clause 0x3
	global_load_dword v71, v57, s[6:7] offset:224
	global_load_dword v68, v57, s[6:7] offset:1904
	;; [unrolled: 1-line block ×4, first 2 shown]
	s_clause 0x1
	global_load_dword v9, v[2:3], off
	global_load_dword v10, v[0:1], off
	v_add_co_u32 v0, vcc_lo, v0, s12
	v_add_co_ci_u32_e32 v1, vcc_lo, s13, v1, vcc_lo
	v_add_co_u32 v24, vcc_lo, 0x800, v26
	v_add_co_ci_u32_e32 v25, vcc_lo, 0, v27, vcc_lo
	global_load_dword v11, v[0:1], off
	v_add_co_u32 v0, vcc_lo, v0, s0
	v_add_co_ci_u32_e32 v1, vcc_lo, s1, v1, vcc_lo
	global_load_dword v66, v[24:25], off offset:80
	v_add_co_u32 v2, vcc_lo, v0, s12
	v_add_co_ci_u32_e32 v3, vcc_lo, s13, v1, vcc_lo
	global_load_dword v13, v[0:1], off
	v_add_co_u32 v0, vcc_lo, v2, s0
	v_add_co_ci_u32_e32 v1, vcc_lo, s1, v3, vcc_lo
	global_load_dword v64, v[24:25], off offset:304
	global_load_dword v14, v[2:3], off
	s_clause 0x1
	global_load_dword v63, v57, s[6:7] offset:896
	global_load_dword v61, v57, s[6:7] offset:1120
	global_load_dword v15, v[0:1], off
	v_add_co_u32 v0, vcc_lo, v0, s12
	v_add_co_ci_u32_e32 v1, vcc_lo, s13, v1, vcc_lo
	global_load_dword v62, v[24:25], off offset:528
	v_add_co_u32 v2, vcc_lo, v0, s0
	v_add_co_ci_u32_e32 v3, vcc_lo, s1, v1, vcc_lo
	global_load_dword v16, v[0:1], off
	v_add_co_u32 v0, vcc_lo, v2, s12
	v_add_co_ci_u32_e32 v1, vcc_lo, s13, v3, vcc_lo
	global_load_dword v17, v[2:3], off
	;; [unrolled: 3-line block ×3, first 2 shown]
	v_add_co_u32 v0, vcc_lo, v2, s12
	v_add_co_ci_u32_e32 v1, vcc_lo, s13, v3, vcc_lo
	global_load_dword v60, v[24:25], off offset:752
	global_load_dword v2, v[2:3], off
	global_load_dword v3, v[0:1], off
	s_clause 0x1
	global_load_dword v59, v57, s[6:7] offset:1344
	global_load_dword v58, v[24:25], off offset:976
	s_load_dwordx2 s[6:7], s[4:5], 0x38
	s_load_dwordx4 s[8:11], s[2:3], 0x0
	v_cmp_gt_u16_e32 vcc_lo, 28, v7
	s_waitcnt vmcnt(25)
	v_lshrrev_b32_e32 v19, 16, v5
	v_mul_f16_sdwa v20, v72, v5 dst_sel:DWORD dst_unused:UNUSED_PAD src0_sel:WORD_1 src1_sel:DWORD
	s_waitcnt vmcnt(24)
	v_lshrrev_b32_e32 v22, 16, v6
	v_mul_f16_sdwa v23, v70, v6 dst_sel:DWORD dst_unused:UNUSED_PAD src0_sel:WORD_1 src1_sel:DWORD
	v_mul_f16_sdwa v21, v72, v19 dst_sel:DWORD dst_unused:UNUSED_PAD src0_sel:WORD_1 src1_sel:DWORD
	v_fma_f16 v19, v72, v19, -v20
	v_fmac_f16_e32 v21, v72, v5
	v_mul_f16_sdwa v5, v70, v22 dst_sel:DWORD dst_unused:UNUSED_PAD src0_sel:WORD_1 src1_sel:DWORD
	v_fma_f16 v22, v70, v22, -v23
	s_waitcnt vmcnt(23)
	v_lshrrev_b32_e32 v20, 16, v8
	s_waitcnt vmcnt(22)
	v_mul_f16_sdwa v23, v71, v8 dst_sel:DWORD dst_unused:UNUSED_PAD src0_sel:WORD_1 src1_sel:DWORD
	v_pack_b32_f16 v19, v21, v19
	v_fmac_f16_e32 v5, v70, v6
	s_waitcnt vmcnt(18)
	v_lshrrev_b32_e32 v21, 16, v9
	v_mul_f16_sdwa v6, v71, v20 dst_sel:DWORD dst_unused:UNUSED_PAD src0_sel:WORD_1 src1_sel:DWORD
	v_mul_f16_sdwa v29, v68, v9 dst_sel:DWORD dst_unused:UNUSED_PAD src0_sel:WORD_1 src1_sel:DWORD
	v_fma_f16 v20, v71, v20, -v23
	v_pack_b32_f16 v5, v5, v22
	s_waitcnt vmcnt(17)
	v_lshrrev_b32_e32 v22, 16, v10
	v_fmac_f16_e32 v6, v71, v8
	v_mul_f16_sdwa v8, v68, v21 dst_sel:DWORD dst_unused:UNUSED_PAD src0_sel:WORD_1 src1_sel:DWORD
	v_fma_f16 v21, v68, v21, -v29
	v_mul_f16_sdwa v23, v67, v10 dst_sel:DWORD dst_unused:UNUSED_PAD src0_sel:WORD_1 src1_sel:DWORD
	ds_write_b32 v57, v5 offset:1680
	v_pack_b32_f16 v5, v6, v20
	v_fmac_f16_e32 v8, v68, v9
	v_mul_f16_sdwa v6, v67, v22 dst_sel:DWORD dst_unused:UNUSED_PAD src0_sel:WORD_1 src1_sel:DWORD
	s_waitcnt vmcnt(16)
	v_lshrrev_b32_e32 v20, 16, v11
	v_fma_f16 v9, v67, v22, -v23
	s_waitcnt vmcnt(15)
	v_mul_f16_sdwa v22, v66, v11 dst_sel:DWORD dst_unused:UNUSED_PAD src0_sel:WORD_1 src1_sel:DWORD
	ds_write2_b32 v57, v19, v5 offset1:56
	v_pack_b32_f16 v5, v8, v21
	v_fmac_f16_e32 v6, v67, v10
	v_mul_f16_sdwa v8, v66, v20 dst_sel:DWORD dst_unused:UNUSED_PAD src0_sel:WORD_1 src1_sel:DWORD
	s_waitcnt vmcnt(14)
	v_lshrrev_b32_e32 v10, 16, v13
	v_fma_f16 v19, v66, v20, -v22
	v_mul_f16_sdwa v20, v65, v13 dst_sel:DWORD dst_unused:UNUSED_PAD src0_sel:WORD_1 src1_sel:DWORD
	v_pack_b32_f16 v6, v6, v9
	v_fmac_f16_e32 v8, v66, v11
	v_mul_f16_sdwa v9, v65, v10 dst_sel:DWORD dst_unused:UNUSED_PAD src0_sel:WORD_1 src1_sel:DWORD
	s_waitcnt vmcnt(12)
	v_lshrrev_b32_e32 v11, 16, v14
	v_fma_f16 v10, v65, v10, -v20
	v_mul_f16_sdwa v21, v64, v14 dst_sel:DWORD dst_unused:UNUSED_PAD src0_sel:WORD_1 src1_sel:DWORD
	v_pack_b32_f16 v8, v8, v19
	v_fmac_f16_e32 v9, v65, v13
	v_mul_f16_sdwa v13, v64, v11 dst_sel:DWORD dst_unused:UNUSED_PAD src0_sel:WORD_1 src1_sel:DWORD
	s_waitcnt vmcnt(9)
	v_lshrrev_b32_e32 v19, 16, v15
	v_fma_f16 v11, v64, v11, -v21
	ds_write2_b32 v4, v5, v8 offset0:92 offset1:148
	v_pack_b32_f16 v5, v9, v10
	s_waitcnt vmcnt(7)
	v_lshrrev_b32_e32 v10, 16, v16
	v_mul_f16_sdwa v20, v63, v15 dst_sel:DWORD dst_unused:UNUSED_PAD src0_sel:WORD_1 src1_sel:DWORD
	v_fmac_f16_e32 v13, v64, v14
	v_mul_f16_sdwa v8, v63, v19 dst_sel:DWORD dst_unused:UNUSED_PAD src0_sel:WORD_1 src1_sel:DWORD
	v_mul_f16_sdwa v14, v62, v16 dst_sel:DWORD dst_unused:UNUSED_PAD src0_sel:WORD_1 src1_sel:DWORD
	ds_write2_b32 v57, v6, v5 offset0:112 offset1:168
	v_mul_f16_sdwa v5, v62, v10 dst_sel:DWORD dst_unused:UNUSED_PAD src0_sel:WORD_1 src1_sel:DWORD
	v_fma_f16 v9, v63, v19, -v20
	v_pack_b32_f16 v6, v13, v11
	v_fmac_f16_e32 v8, v63, v15
	s_waitcnt vmcnt(6)
	v_lshrrev_b32_e32 v11, 16, v17
	v_mul_f16_sdwa v13, v61, v17 dst_sel:DWORD dst_unused:UNUSED_PAD src0_sel:WORD_1 src1_sel:DWORD
	v_fma_f16 v10, v62, v10, -v14
	v_fmac_f16_e32 v5, v62, v16
	v_pack_b32_f16 v8, v8, v9
	v_mul_f16_sdwa v9, v61, v11 dst_sel:DWORD dst_unused:UNUSED_PAD src0_sel:WORD_1 src1_sel:DWORD
	v_fma_f16 v11, v61, v11, -v13
	s_waitcnt vmcnt(5)
	v_lshrrev_b32_e32 v13, 16, v18
	s_waitcnt vmcnt(4)
	v_mul_f16_sdwa v14, v60, v18 dst_sel:DWORD dst_unused:UNUSED_PAD src0_sel:WORD_1 src1_sel:DWORD
	v_pack_b32_f16 v10, v5, v10
	s_waitcnt vmcnt(3)
	v_lshrrev_b32_e32 v5, 16, v2
	s_waitcnt vmcnt(2)
	v_lshrrev_b32_e32 v15, 16, v3
	v_fmac_f16_e32 v9, v61, v17
	v_mul_f16_sdwa v16, v60, v13 dst_sel:DWORD dst_unused:UNUSED_PAD src0_sel:WORD_1 src1_sel:DWORD
	v_fma_f16 v13, v60, v13, -v14
	s_waitcnt vmcnt(1)
	v_mul_f16_sdwa v14, v59, v2 dst_sel:DWORD dst_unused:UNUSED_PAD src0_sel:WORD_1 src1_sel:DWORD
	v_mul_f16_sdwa v17, v59, v5 dst_sel:DWORD dst_unused:UNUSED_PAD src0_sel:WORD_1 src1_sel:DWORD
	s_waitcnt vmcnt(0)
	v_mul_f16_sdwa v19, v58, v15 dst_sel:DWORD dst_unused:UNUSED_PAD src0_sel:WORD_1 src1_sel:DWORD
	v_mul_f16_sdwa v20, v58, v3 dst_sel:DWORD dst_unused:UNUSED_PAD src0_sel:WORD_1 src1_sel:DWORD
	v_fmac_f16_e32 v16, v60, v18
	v_fma_f16 v14, v59, v5, -v14
	v_fmac_f16_e32 v17, v59, v2
	v_fmac_f16_e32 v19, v58, v3
	v_fma_f16 v2, v58, v15, -v20
	v_add_nc_u32_e32 v5, 0x200, v57
	v_pack_b32_f16 v3, v9, v11
	v_pack_b32_f16 v11, v17, v14
	;; [unrolled: 1-line block ×4, first 2 shown]
	ds_write2_b32 v12, v6, v10 offset0:76 offset1:132
	ds_write2_b32 v5, v8, v3 offset0:96 offset1:152
	ds_write_b32 v57, v11 offset:1344
	ds_write2_b32 v12, v9, v2 offset0:188 offset1:244
	s_and_saveexec_b32 s2, vcc_lo
	s_cbranch_execz .LBB0_3
; %bb.2:
	v_add_co_u32 v0, s0, v0, s0
	v_add_co_ci_u32_e64 v1, s0, s1, v1, s0
	v_add_co_u32 v2, s0, v0, s12
	v_add_co_ci_u32_e64 v3, s0, s13, v1, s0
	global_load_dword v0, v[0:1], off
	global_load_dword v1, v[2:3], off
	s_clause 0x1
	global_load_dword v2, v[26:27], off offset:1568
	global_load_dword v3, v[24:25], off offset:1200
	s_waitcnt vmcnt(3)
	v_lshrrev_b32_e32 v6, 16, v0
	s_waitcnt vmcnt(2)
	v_lshrrev_b32_e32 v7, 16, v1
	s_waitcnt vmcnt(1)
	v_mul_f16_sdwa v8, v2, v0 dst_sel:DWORD dst_unused:UNUSED_PAD src0_sel:WORD_1 src1_sel:DWORD
	s_waitcnt vmcnt(0)
	v_mul_f16_sdwa v11, v3, v1 dst_sel:DWORD dst_unused:UNUSED_PAD src0_sel:WORD_1 src1_sel:DWORD
	v_mul_f16_sdwa v9, v2, v6 dst_sel:DWORD dst_unused:UNUSED_PAD src0_sel:WORD_1 src1_sel:DWORD
	;; [unrolled: 1-line block ×3, first 2 shown]
	v_fma_f16 v6, v2, v6, -v8
	v_fmac_f16_e32 v9, v2, v0
	v_fmac_f16_e32 v10, v3, v1
	v_fma_f16 v0, v3, v7, -v11
	v_pack_b32_f16 v1, v9, v6
	v_pack_b32_f16 v0, v10, v0
	ds_write_b32 v57, v1 offset:1568
	ds_write_b32 v57, v0 offset:3248
.LBB0_3:
	s_or_b32 exec_lo, exec_lo, s2
	v_add_nc_u32_e32 v0, 0x400, v57
	s_waitcnt lgkmcnt(0)
	s_barrier
	buffer_gl0_inv
	ds_read2_b32 v[8:9], v57 offset1:56
	ds_read2_b32 v[2:3], v0 offset0:80 offset1:164
	ds_read2_b32 v[0:1], v4 offset0:92 offset1:148
	ds_read2_b32 v[6:7], v57 offset0:112 offset1:168
	ds_read2_b32 v[10:11], v12 offset0:76 offset1:132
	ds_read2_b32 v[4:5], v5 offset0:96 offset1:152
	ds_read2_b32 v[12:13], v12 offset0:188 offset1:244
                                        ; implicit-def: $vgpr14
                                        ; implicit-def: $vgpr15
	s_and_saveexec_b32 s0, vcc_lo
	s_cbranch_execz .LBB0_5
; %bb.4:
	ds_read_b32 v14, v57 offset:1568
	ds_read_b32 v15, v57 offset:3248
.LBB0_5:
	s_or_b32 exec_lo, exec_lo, s0
	s_load_dwordx2 s[2:3], s[4:5], 0x8
	v_add_co_u32 v16, s0, v69, 56
	s_waitcnt lgkmcnt(0)
	v_pk_add_f16 v21, v8, v3 neg_lo:[0,1] neg_hi:[0,1]
	v_pk_add_f16 v23, v9, v0 neg_lo:[0,1] neg_hi:[0,1]
	v_add_co_ci_u32_e64 v17, null, 0, 0, s0
	v_add_co_u32 v31, s0, 0x70, v69
	v_lshlrev_b32_e32 v19, 1, v69
	v_pk_add_f16 v33, v6, v1 neg_lo:[0,1] neg_hi:[0,1]
	v_pk_add_f16 v1, v14, v15 neg_lo:[0,1] neg_hi:[0,1]
	;; [unrolled: 1-line block ×3, first 2 shown]
	v_add_co_ci_u32_e64 v17, null, 0, 0, s0
	v_add_co_u32 v18, null, 0xa8, v69
	v_add_co_u32 v17, null, 0xe0, v69
	;; [unrolled: 1-line block ×3, first 2 shown]
	v_lshlrev_b32_e32 v78, 3, v69
	v_pk_fma_f16 v20, v8, 2.0, v21 op_sel_hi:[1,0,1] neg_lo:[0,0,1] neg_hi:[0,0,1]
	v_lshlrev_b32_e32 v80, 3, v16
	v_pk_fma_f16 v22, v9, 2.0, v23 op_sel_hi:[1,0,1] neg_lo:[0,0,1] neg_hi:[0,0,1]
	v_pk_add_f16 v10, v7, v10 neg_lo:[0,1] neg_hi:[0,1]
	v_pk_add_f16 v12, v5, v12 neg_lo:[0,1] neg_hi:[0,1]
	;; [unrolled: 1-line block ×3, first 2 shown]
	v_pk_fma_f16 v0, v14, 2.0, v1 op_sel_hi:[1,0,1] neg_lo:[0,0,1] neg_hi:[0,0,1]
	v_pk_fma_f16 v14, v4, 2.0, v15 op_sel_hi:[1,0,1] neg_lo:[0,0,1] neg_hi:[0,0,1]
	v_lshlrev_b32_e32 v4, 2, v19
	s_barrier
	buffer_gl0_inv
	ds_write_b64 v78, v[20:21]
	v_lshlrev_b32_e32 v21, 1, v16
	ds_write_b64 v80, v[22:23]
	v_lshlrev_b32_e32 v20, 1, v31
	v_lshlrev_b32_e32 v77, 3, v31
	v_pk_fma_f16 v32, v6, 2.0, v33 op_sel_hi:[1,0,1] neg_lo:[0,0,1] neg_hi:[0,0,1]
	v_lshlrev_b32_e32 v22, 1, v18
	v_lshlrev_b32_e32 v79, 3, v18
	;; [unrolled: 1-line block ×4, first 2 shown]
	v_add_nc_u32_e32 v91, 0x230, v19
	v_add_nc_u32_e32 v92, 0x2a0, v19
	v_lshlrev_b32_e32 v82, 3, v29
	v_pk_fma_f16 v9, v7, 2.0, v10 op_sel_hi:[1,0,1] neg_lo:[0,0,1] neg_hi:[0,0,1]
	v_pk_fma_f16 v11, v5, 2.0, v12 op_sel_hi:[1,0,1] neg_lo:[0,0,1] neg_hi:[0,0,1]
	;; [unrolled: 1-line block ×3, first 2 shown]
	v_add_nc_u32_e32 v4, 0x800, v4
	ds_write_b64 v77, v[32:33]
	ds_write_b64 v79, v[9:10]
	;; [unrolled: 1-line block ×3, first 2 shown]
	ds_write2_b64 v4, v[11:12], v[2:3] offset0:24 offset1:80
	s_and_saveexec_b32 s0, vcc_lo
	s_cbranch_execz .LBB0_7
; %bb.6:
	ds_write_b64 v82, v[0:1]
.LBB0_7:
	s_or_b32 exec_lo, exec_lo, s0
	v_add_nc_u32_e32 v4, 0x400, v57
	v_add_nc_u32_e32 v6, 0x600, v57
	;; [unrolled: 1-line block ×4, first 2 shown]
	s_waitcnt lgkmcnt(0)
	s_barrier
	buffer_gl0_inv
	ds_read2_b32 v[2:3], v57 offset1:56
	ds_read2_b32 v[4:5], v4 offset0:80 offset1:164
	ds_read2_b32 v[14:15], v6 offset0:92 offset1:148
	;; [unrolled: 1-line block ×6, first 2 shown]
	s_and_saveexec_b32 s0, vcc_lo
	s_cbranch_execz .LBB0_9
; %bb.8:
	ds_read_b32 v0, v57 offset:1568
	ds_read_b32 v1, v57 offset:3248
.LBB0_9:
	s_or_b32 exec_lo, exec_lo, s0
	v_and_b32_e32 v74, 1, v69
	v_lshlrev_b32_e32 v73, 1, v29
	s_waitcnt lgkmcnt(4)
	v_lshrrev_b32_e32 v34, 16, v14
	v_lshrrev_b32_e32 v36, 16, v15
	s_waitcnt lgkmcnt(2)
	v_lshrrev_b32_e32 v38, 16, v12
	v_lshlrev_b32_e32 v30, 2, v74
	v_and_or_b32 v29, 0x7c, v19, v74
	v_and_or_b32 v47, 0xfc, v21, v74
	;; [unrolled: 1-line block ×4, first 2 shown]
	global_load_dword v75, v30, s[2:3]
	v_lshrrev_b32_e32 v30, 16, v5
	v_and_or_b32 v50, 0x3fc, v23, v74
	v_and_or_b32 v51, 0x2fc, v91, v74
	;; [unrolled: 1-line block ×3, first 2 shown]
	v_lshrrev_b32_e32 v40, 16, v13
	s_waitcnt lgkmcnt(0)
	v_lshrrev_b32_e32 v42, 16, v10
	v_lshrrev_b32_e32 v44, 16, v11
	;; [unrolled: 1-line block ×3, first 2 shown]
	v_lshlrev_b32_e32 v88, 2, v29
	v_lshlrev_b32_e32 v89, 2, v47
	;; [unrolled: 1-line block ×7, first 2 shown]
	v_lshrrev_b32_e32 v32, 16, v2
	v_lshrrev_b32_e32 v33, 16, v3
	;; [unrolled: 1-line block ×8, first 2 shown]
	s_waitcnt vmcnt(0)
	s_barrier
	buffer_gl0_inv
	v_mul_f16_sdwa v29, v30, v75 dst_sel:DWORD dst_unused:UNUSED_PAD src0_sel:DWORD src1_sel:WORD_1
	v_mul_f16_sdwa v47, v5, v75 dst_sel:DWORD dst_unused:UNUSED_PAD src0_sel:DWORD src1_sel:WORD_1
	v_mul_f16_sdwa v48, v34, v75 dst_sel:DWORD dst_unused:UNUSED_PAD src0_sel:DWORD src1_sel:WORD_1
	v_mul_f16_sdwa v49, v14, v75 dst_sel:DWORD dst_unused:UNUSED_PAD src0_sel:DWORD src1_sel:WORD_1
	v_mul_f16_sdwa v50, v36, v75 dst_sel:DWORD dst_unused:UNUSED_PAD src0_sel:DWORD src1_sel:WORD_1
	v_mul_f16_sdwa v51, v15, v75 dst_sel:DWORD dst_unused:UNUSED_PAD src0_sel:DWORD src1_sel:WORD_1
	v_mul_f16_sdwa v52, v38, v75 dst_sel:DWORD dst_unused:UNUSED_PAD src0_sel:DWORD src1_sel:WORD_1
	v_mul_f16_sdwa v53, v12, v75 dst_sel:DWORD dst_unused:UNUSED_PAD src0_sel:DWORD src1_sel:WORD_1
	v_mul_f16_sdwa v54, v40, v75 dst_sel:DWORD dst_unused:UNUSED_PAD src0_sel:DWORD src1_sel:WORD_1
	v_mul_f16_sdwa v55, v13, v75 dst_sel:DWORD dst_unused:UNUSED_PAD src0_sel:DWORD src1_sel:WORD_1
	v_mul_f16_sdwa v56, v42, v75 dst_sel:DWORD dst_unused:UNUSED_PAD src0_sel:DWORD src1_sel:WORD_1
	v_mul_f16_sdwa v76, v10, v75 dst_sel:DWORD dst_unused:UNUSED_PAD src0_sel:DWORD src1_sel:WORD_1
	v_mul_f16_sdwa v90, v44, v75 dst_sel:DWORD dst_unused:UNUSED_PAD src0_sel:DWORD src1_sel:WORD_1
	v_mul_f16_sdwa v93, v11, v75 dst_sel:DWORD dst_unused:UNUSED_PAD src0_sel:DWORD src1_sel:WORD_1
	v_mul_f16_sdwa v94, v45, v75 dst_sel:DWORD dst_unused:UNUSED_PAD src0_sel:DWORD src1_sel:WORD_1
	v_mul_f16_sdwa v95, v1, v75 dst_sel:DWORD dst_unused:UNUSED_PAD src0_sel:DWORD src1_sel:WORD_1
	v_fmac_f16_e32 v47, v30, v75
	v_fma_f16 v5, v5, v75, -v29
	v_fma_f16 v14, v14, v75, -v48
	v_fmac_f16_e32 v49, v34, v75
	v_fma_f16 v15, v15, v75, -v50
	v_fmac_f16_e32 v51, v36, v75
	v_fmac_f16_e32 v53, v38, v75
	v_fma_f16 v12, v12, v75, -v52
	v_fma_f16 v13, v13, v75, -v54
	v_fmac_f16_e32 v55, v40, v75
	v_fma_f16 v10, v10, v75, -v56
	v_fmac_f16_e32 v76, v42, v75
	;; [unrolled: 2-line block ×4, first 2 shown]
	v_sub_f16_e32 v5, v2, v5
	v_sub_f16_e32 v34, v32, v47
	;; [unrolled: 1-line block ×16, first 2 shown]
	v_fma_f16 v1, v2, 2.0, -v5
	v_fma_f16 v2, v32, 2.0, -v34
	;; [unrolled: 1-line block ×16, first 2 shown]
	v_pack_b32_f16 v0, v5, v34
	v_pack_b32_f16 v1, v1, v2
	;; [unrolled: 1-line block ×14, first 2 shown]
	ds_write2_b32 v88, v1, v0 offset1:2
	ds_write2_b32 v89, v2, v5 offset1:2
	;; [unrolled: 1-line block ×7, first 2 shown]
	s_and_saveexec_b32 s0, vcc_lo
	s_cbranch_execz .LBB0_11
; %bb.10:
	v_and_or_b32 v0, 0x37c, v73, v74
	v_perm_b32 v1, v15, v14, 0x5040100
	v_perm_b32 v2, v30, v29, 0x5040100
	v_lshlrev_b32_e32 v0, 2, v0
	ds_write2_b32 v0, v1, v2 offset1:2
.LBB0_11:
	s_or_b32 exec_lo, exec_lo, s0
	v_add_nc_u32_e32 v2, 0x400, v57
	v_add_nc_u32_e32 v4, 0x600, v57
	;; [unrolled: 1-line block ×4, first 2 shown]
	s_waitcnt lgkmcnt(0)
	s_barrier
	buffer_gl0_inv
	ds_read2_b32 v[0:1], v57 offset1:56
	ds_read2_b32 v[2:3], v2 offset0:80 offset1:164
	ds_read2_b32 v[12:13], v4 offset0:92 offset1:148
	ds_read2_b32 v[6:7], v57 offset0:112 offset1:168
	ds_read2_b32 v[10:11], v8 offset0:76 offset1:132
	ds_read2_b32 v[4:5], v5 offset0:96 offset1:152
	ds_read2_b32 v[8:9], v8 offset0:188 offset1:244
	s_and_saveexec_b32 s0, vcc_lo
	s_cbranch_execz .LBB0_13
; %bb.12:
	ds_read_b32 v14, v57 offset:1568
	ds_read_b32 v29, v57 offset:3248
	s_waitcnt lgkmcnt(1)
	v_lshrrev_b32_e32 v15, 16, v14
	s_waitcnt lgkmcnt(0)
	v_lshrrev_b32_e32 v30, 16, v29
.LBB0_13:
	s_or_b32 exec_lo, exec_lo, s0
	v_and_b32_e32 v76, 3, v69
	s_waitcnt lgkmcnt(5)
	v_lshrrev_b32_e32 v33, 16, v3
	s_waitcnt lgkmcnt(4)
	v_lshrrev_b32_e32 v35, 16, v12
	v_lshrrev_b32_e32 v37, 16, v13
	s_waitcnt lgkmcnt(2)
	v_lshrrev_b32_e32 v38, 16, v10
	v_lshlrev_b32_e32 v32, 2, v76
	v_and_or_b32 v19, 0x78, v19, v76
	v_and_or_b32 v20, 0x1f8, v20, v76
	v_and_or_b32 v21, 0xf8, v21, v76
	v_and_or_b32 v22, 0x1f8, v22, v76
	global_load_dword v90, v32, s[2:3] offset:8
	v_and_or_b32 v23, 0x3f8, v23, v76
	v_and_or_b32 v46, 0x2f8, v91, v76
	;; [unrolled: 1-line block ×3, first 2 shown]
	v_lshrrev_b32_e32 v41, 16, v11
	s_waitcnt lgkmcnt(0)
	v_lshrrev_b32_e32 v43, 16, v8
	v_lshrrev_b32_e32 v45, 16, v9
	v_lshlrev_b32_e32 v98, 2, v19
	v_lshlrev_b32_e32 v93, 2, v20
	;; [unrolled: 1-line block ×7, first 2 shown]
	v_lshrrev_b32_e32 v32, 16, v0
	v_lshrrev_b32_e32 v34, 16, v1
	;; [unrolled: 1-line block ×7, first 2 shown]
	s_waitcnt vmcnt(0)
	s_barrier
	buffer_gl0_inv
	v_mul_f16_sdwa v19, v33, v90 dst_sel:DWORD dst_unused:UNUSED_PAD src0_sel:DWORD src1_sel:WORD_1
	v_mul_f16_sdwa v20, v3, v90 dst_sel:DWORD dst_unused:UNUSED_PAD src0_sel:DWORD src1_sel:WORD_1
	;; [unrolled: 1-line block ×15, first 2 shown]
	v_fma_f16 v3, v3, v90, -v19
	v_fmac_f16_e32 v20, v33, v90
	v_fma_f16 v12, v12, v90, -v21
	v_fmac_f16_e32 v22, v35, v90
	;; [unrolled: 2-line block ×5, first 2 shown]
	v_mul_f16_sdwa v56, v29, v90 dst_sel:DWORD dst_unused:UNUSED_PAD src0_sel:DWORD src1_sel:WORD_1
	v_fma_f16 v8, v8, v90, -v51
	v_fmac_f16_e32 v52, v43, v90
	v_fma_f16 v9, v9, v90, -v53
	v_fmac_f16_e32 v54, v45, v90
	v_fma_f16 v19, v29, v90, -v55
	v_sub_f16_e32 v3, v0, v3
	v_sub_f16_e32 v20, v32, v20
	;; [unrolled: 1-line block ×10, first 2 shown]
	v_fmac_f16_e32 v56, v30, v90
	v_sub_f16_e32 v8, v5, v8
	v_sub_f16_e32 v30, v42, v52
	;; [unrolled: 1-line block ×5, first 2 shown]
	v_fma_f16 v0, v0, 2.0, -v3
	v_fma_f16 v19, v32, 2.0, -v20
	;; [unrolled: 1-line block ×10, first 2 shown]
	v_sub_f16_e32 v108, v15, v56
	v_fma_f16 v5, v5, 2.0, -v8
	v_fma_f16 v37, v42, 2.0, -v30
	;; [unrolled: 1-line block ×4, first 2 shown]
	v_pack_b32_f16 v3, v3, v20
	v_pack_b32_f16 v0, v0, v19
	;; [unrolled: 1-line block ×14, first 2 shown]
	ds_write2_b32 v98, v0, v3 offset1:4
	ds_write2_b32 v99, v1, v12 offset1:4
	;; [unrolled: 1-line block ×7, first 2 shown]
	s_and_saveexec_b32 s0, vcc_lo
	s_cbranch_execz .LBB0_15
; %bb.14:
	v_fma_f16 v0, v14, 2.0, -v38
	v_and_or_b32 v1, 0x378, v73, v76
	v_fma_f16 v2, v15, 2.0, -v108
	v_lshlrev_b32_e32 v1, 2, v1
	v_pack_b32_f16 v0, v0, v2
	v_perm_b32 v2, v108, v38, 0x5040100
	ds_write2_b32 v1, v0, v2 offset1:4
.LBB0_15:
	s_or_b32 exec_lo, exec_lo, s0
	v_and_b32_e32 v15, 7, v69
	s_waitcnt lgkmcnt(0)
	s_barrier
	buffer_gl0_inv
	v_add_nc_u32_e32 v2, 0x200, v57
	v_lshlrev_b32_e32 v0, 3, v15
	v_add_nc_u32_e32 v1, 0x400, v57
	v_lshrrev_b32_e32 v20, 3, v69
	v_lshrrev_b32_e32 v21, 3, v16
	;; [unrolled: 1-line block ×3, first 2 shown]
	global_load_dwordx2 v[29:30], v0, s[2:3] offset:24
	v_add_nc_u32_e32 v0, 0x800, v57
	v_lshrrev_b32_e32 v23, 3, v18
	v_lshrrev_b32_e32 v32, 3, v17
	v_and_b32_e32 v33, 0xff, v69
	v_and_b32_e32 v34, 0xff, v16
	ds_read2_b32 v[3:4], v57 offset1:56
	ds_read2_b32 v[5:6], v57 offset0:112 offset1:168
	ds_read_b32 v19, v57 offset:3136
	ds_read2_b32 v[7:8], v2 offset0:96 offset1:152
	ds_read2_b32 v[9:10], v0 offset0:48 offset1:104
	;; [unrolled: 1-line block ×5, first 2 shown]
	v_mul_u32_u24_e32 v20, 24, v20
	v_mul_u32_u24_e32 v21, 24, v21
	;; [unrolled: 1-line block ×5, first 2 shown]
	v_mul_lo_u16 v33, 0xab, v33
	v_mul_lo_u16 v34, 0xab, v34
	v_and_b32_e32 v35, 0xff, v31
	v_or_b32_e32 v20, v20, v15
	v_or_b32_e32 v21, v21, v15
	;; [unrolled: 1-line block ×5, first 2 shown]
	v_lshrrev_b16 v36, 12, v33
	v_lshrrev_b16 v39, 12, v34
	v_mul_lo_u16 v35, 0xab, v35
	v_lshlrev_b32_e32 v107, 2, v20
	v_lshlrev_b32_e32 v102, 2, v15
	v_mul_lo_u16 v15, v36, 24
	v_mul_lo_u16 v20, v39, 24
	v_lshrrev_b16 v40, 12, v35
	s_waitcnt lgkmcnt(3)
	v_lshrrev_b32_e32 v35, 16, v9
	s_waitcnt lgkmcnt(2)
	v_lshrrev_b32_e32 v37, 16, v11
	v_sub_nc_u16 v15, v69, v15
	v_sub_nc_u16 v16, v16, v20
	v_lshrrev_b32_e32 v20, 16, v8
	v_lshrrev_b32_e32 v41, 16, v10
	;; [unrolled: 1-line block ×3, first 2 shown]
	s_waitcnt lgkmcnt(1)
	v_lshrrev_b32_e32 v43, 16, v13
	v_lshrrev_b32_e32 v34, 16, v19
	s_waitcnt lgkmcnt(0)
	v_lshrrev_b32_e32 v44, 16, v17
	v_and_b32_e32 v45, 0xff, v15
	v_lshrrev_b32_e32 v15, 16, v14
	v_lshrrev_b32_e32 v47, 16, v18
	v_lshlrev_b32_e32 v104, 2, v22
	v_lshlrev_b32_e32 v103, 2, v23
	v_lshrrev_b32_e32 v22, 16, v3
	v_lshrrev_b32_e32 v23, 16, v4
	;; [unrolled: 1-line block ×5, first 2 shown]
	v_lshlrev_b32_e32 v106, 2, v21
	v_mul_lo_u16 v21, v40, 24
	s_waitcnt vmcnt(0)
	s_barrier
	buffer_gl0_inv
	v_and_b32_e32 v48, 0xff, v16
	v_lshlrev_b32_e32 v16, 4, v45
	v_cmp_gt_u16_e64 s0, 8, v69
	v_mul_f16_sdwa v49, v20, v29 dst_sel:DWORD dst_unused:UNUSED_PAD src0_sel:DWORD src1_sel:WORD_1
	v_mul_f16_sdwa v50, v8, v29 dst_sel:DWORD dst_unused:UNUSED_PAD src0_sel:DWORD src1_sel:WORD_1
	;; [unrolled: 1-line block ×20, first 2 shown]
	v_fma_f16 v8, v8, v29, -v49
	v_fmac_f16_e32 v50, v20, v29
	v_fma_f16 v9, v9, v30, -v51
	v_fmac_f16_e32 v52, v35, v30
	;; [unrolled: 2-line block ×10, first 2 shown]
	v_add_f16_e32 v20, v8, v9
	v_add_f16_e32 v37, v50, v52
	;; [unrolled: 1-line block ×4, first 2 shown]
	v_sub_f16_e32 v34, v50, v52
	v_add_f16_e32 v35, v22, v50
	v_sub_f16_e32 v43, v54, v56
	v_add_f16_e32 v44, v23, v54
	v_add_f16_e32 v50, v12, v13
	;; [unrolled: 1-line block ×4, first 2 shown]
	v_sub_f16_e32 v8, v8, v9
	v_add_f16_e32 v41, v4, v11
	v_sub_f16_e32 v51, v101, v109
	v_add_f16_e32 v53, v32, v101
	v_add_f16_e32 v100, v17, v14
	v_sub_f16_e32 v101, v111, v113
	v_add_f16_e32 v105, v33, v111
	v_add_f16_e32 v110, v111, v113
	;; [unrolled: 1-line block ×4, first 2 shown]
	v_sub_f16_e32 v114, v115, v117
	v_add_f16_e32 v116, v46, v115
	v_add_f16_e32 v115, v115, v117
	v_fma_f16 v3, -0.5, v20, v3
	v_fmac_f16_e32 v22, -0.5, v37
	v_sub_f16_e32 v11, v11, v10
	v_fmac_f16_e32 v4, -0.5, v42
	v_fmac_f16_e32 v23, -0.5, v47
	v_add_f16_e32 v49, v5, v12
	v_sub_f16_e32 v12, v12, v13
	v_fma_f16 v5, -0.5, v50, v5
	v_fmac_f16_e32 v32, -0.5, v54
	v_add_f16_e32 v55, v6, v17
	v_sub_f16_e32 v17, v17, v14
	v_sub_f16_e32 v15, v15, v18
	v_add_f16_e32 v9, v19, v9
	v_add_f16_e32 v19, v35, v52
	;; [unrolled: 1-line block ×3, first 2 shown]
	v_fmac_f16_e32 v6, -0.5, v100
	v_fmac_f16_e32 v33, -0.5, v110
	v_add_f16_e32 v18, v111, v18
	v_fmac_f16_e32 v7, -0.5, v112
	v_add_f16_e32 v41, v116, v117
	v_fmac_f16_e32 v46, -0.5, v115
	v_fmamk_f16 v42, v34, 0x3aee, v3
	v_fmac_f16_e32 v3, 0xbaee, v34
	v_fmamk_f16 v34, v8, 0xbaee, v22
	v_fmac_f16_e32 v22, 0x3aee, v8
	v_add_f16_e32 v20, v44, v56
	v_fmamk_f16 v8, v43, 0x3aee, v4
	v_fmac_f16_e32 v4, 0xbaee, v43
	v_fmamk_f16 v43, v11, 0xbaee, v23
	v_fmac_f16_e32 v23, 0x3aee, v11
	v_add_f16_e32 v13, v49, v13
	v_add_f16_e32 v35, v53, v109
	v_fmamk_f16 v11, v51, 0x3aee, v5
	v_fmamk_f16 v44, v12, 0xbaee, v32
	v_add_f16_e32 v14, v55, v14
	v_add_f16_e32 v37, v105, v113
	v_fmac_f16_e32 v5, 0xbaee, v51
	v_fmac_f16_e32 v32, 0x3aee, v12
	v_fmamk_f16 v12, v101, 0x3aee, v6
	v_fmac_f16_e32 v6, 0xbaee, v101
	v_fmamk_f16 v47, v17, 0xbaee, v33
	;; [unrolled: 2-line block ×4, first 2 shown]
	v_fmac_f16_e32 v46, 0x3aee, v15
	v_pack_b32_f16 v9, v9, v19
	v_pack_b32_f16 v15, v18, v41
	v_pack_b32_f16 v18, v42, v34
	v_pack_b32_f16 v3, v3, v22
	v_pack_b32_f16 v10, v10, v20
	v_pack_b32_f16 v8, v8, v43
	v_pack_b32_f16 v4, v4, v23
	v_pack_b32_f16 v13, v13, v35
	v_pack_b32_f16 v11, v11, v44
	v_pack_b32_f16 v14, v14, v37
	v_pack_b32_f16 v5, v5, v32
	v_pack_b32_f16 v12, v12, v47
	v_pack_b32_f16 v6, v6, v33
	v_pack_b32_f16 v17, v17, v49
	v_pack_b32_f16 v7, v7, v46
	ds_write2_b32 v107, v9, v18 offset1:8
	ds_write_b32 v107, v3 offset:64
	ds_write2_b32 v106, v10, v8 offset1:8
	ds_write_b32 v106, v4 offset:64
	;; [unrolled: 2-line block ×5, first 2 shown]
	v_sub_nc_u16 v3, v31, v21
	v_lshlrev_b32_e32 v4, 4, v48
	s_waitcnt lgkmcnt(0)
	s_barrier
	buffer_gl0_inv
	v_and_b32_e32 v3, 0xff, v3
	s_clause 0x1
	global_load_dwordx4 v[12:15], v16, s[2:3] offset:88
	global_load_dwordx4 v[8:11], v4, s[2:3] offset:88
	v_mov_b32_e32 v41, 0x78
	v_add_nc_u32_e32 v43, 0x600, v57
	v_lshlrev_b32_e32 v4, 4, v3
	v_mul_u32_u24_sdwa v42, v36, v41 dst_sel:DWORD dst_unused:UNUSED_PAD src0_sel:WORD_0 src1_sel:DWORD
	v_mul_u32_u24_sdwa v39, v39, v41 dst_sel:DWORD dst_unused:UNUSED_PAD src0_sel:WORD_0 src1_sel:DWORD
	global_load_dwordx4 v[4:7], v4, s[2:3] offset:88
	ds_read2_b32 v[16:17], v57 offset1:56
	ds_read2_b32 v[18:19], v57 offset0:112 offset1:168
	ds_read2_b32 v[20:21], v1 offset0:80 offset1:136
	;; [unrolled: 1-line block ×6, first 2 shown]
	v_add_lshl_u32 v105, v42, v45, 2
	ds_read_b32 v42, v57 offset:3136
	v_mul_u32_u24_sdwa v40, v40, v41 dst_sel:DWORD dst_unused:UNUSED_PAD src0_sel:WORD_0 src1_sel:DWORD
	v_add_lshl_u32 v101, v39, v48, 2
	v_add_nc_u32_e32 v41, 0xa00, v57
	s_waitcnt vmcnt(0) lgkmcnt(0)
	s_barrier
	v_add_lshl_u32 v100, v40, v3, 2
	buffer_gl0_inv
	v_lshrrev_b32_e32 v3, 16, v16
	v_lshrrev_b32_e32 v39, 16, v19
	;; [unrolled: 1-line block ×15, first 2 shown]
	v_mul_f16_sdwa v56, v39, v12 dst_sel:DWORD dst_unused:UNUSED_PAD src0_sel:DWORD src1_sel:WORD_1
	v_mul_f16_sdwa v109, v19, v12 dst_sel:DWORD dst_unused:UNUSED_PAD src0_sel:DWORD src1_sel:WORD_1
	;; [unrolled: 1-line block ×24, first 2 shown]
	v_fma_f16 v19, v19, v12, -v56
	v_fmac_f16_e32 v109, v39, v12
	v_fma_f16 v20, v20, v13, -v110
	v_fmac_f16_e32 v111, v40, v13
	v_fma_f16 v23, v23, v14, -v112
	v_fmac_f16_e32 v113, v44, v14
	v_fma_f16 v32, v32, v15, -v114
	v_fmac_f16_e32 v115, v45, v15
	v_fma_f16 v34, v34, v8, -v116
	v_fmac_f16_e32 v117, v47, v8
	v_fma_f16 v21, v21, v9, -v118
	v_fmac_f16_e32 v119, v48, v9
	v_fma_f16 v36, v36, v10, -v120
	v_fmac_f16_e32 v121, v49, v10
	v_fma_f16 v33, v33, v11, -v122
	v_fmac_f16_e32 v123, v50, v11
	v_fma_f16 v35, v35, v4, -v124
	v_fmac_f16_e32 v125, v52, v4
	v_fma_f16 v22, v22, v5, -v126
	v_fmac_f16_e32 v127, v53, v5
	v_fma_f16 v39, v37, v6, -v128
	v_fmac_f16_e32 v129, v54, v6
	v_fma_f16 v40, v42, v7, -v130
	v_fmac_f16_e32 v131, v55, v7
	v_add_f16_e32 v37, v16, v19
	v_add_f16_e32 v42, v20, v23
	v_sub_f16_e32 v47, v19, v20
	v_sub_f16_e32 v48, v32, v23
	v_add_f16_e32 v49, v19, v32
	v_sub_f16_e32 v50, v20, v19
	v_sub_f16_e32 v52, v23, v32
	v_add_f16_e32 v53, v3, v109
	v_add_f16_e32 v54, v111, v113
	;; [unrolled: 1-line block ×7, first 2 shown]
	v_sub_f16_e32 v44, v109, v115
	v_sub_f16_e32 v56, v109, v111
	;; [unrolled: 1-line block ×4, first 2 shown]
	v_add_f16_e32 v128, v34, v33
	v_add_f16_e32 v138, v117, v123
	;; [unrolled: 1-line block ×6, first 2 shown]
	v_sub_f16_e32 v19, v19, v32
	v_sub_f16_e32 v55, v20, v23
	v_add_f16_e32 v146, v35, v40
	v_add_f16_e32 v154, v125, v131
	;; [unrolled: 1-line block ×5, first 2 shown]
	v_fma_f16 v42, -0.5, v42, v16
	v_fma_f16 v16, -0.5, v49, v16
	v_add_f16_e32 v49, v53, v111
	v_fma_f16 v50, -0.5, v54, v3
	v_sub_f16_e32 v45, v111, v113
	v_sub_f16_e32 v110, v115, v113
	;; [unrolled: 1-line block ×4, first 2 shown]
	v_fmac_f16_e32 v3, -0.5, v112
	v_sub_f16_e32 v120, v117, v123
	v_sub_f16_e32 v130, v21, v34
	;; [unrolled: 1-line block ×4, first 2 shown]
	v_add_f16_e32 v21, v116, v21
	v_fma_f16 v54, -0.5, v118, v17
	v_add_f16_e32 v111, v133, v119
	v_fma_f16 v112, -0.5, v134, v46
	v_sub_f16_e32 v122, v119, v121
	v_sub_f16_e32 v132, v36, v33
	;; [unrolled: 1-line block ×9, first 2 shown]
	v_add_f16_e32 v53, v109, v114
	v_fmac_f16_e32 v17, -0.5, v128
	v_fmac_f16_e32 v46, -0.5, v138
	v_add_f16_e32 v22, v140, v22
	v_fma_f16 v37, -0.5, v141, v18
	v_add_f16_e32 v119, v149, v127
	v_fma_f16 v109, -0.5, v150, v51
	v_sub_f16_e32 v143, v127, v129
	v_fmac_f16_e32 v18, -0.5, v146
	v_fmac_f16_e32 v51, -0.5, v154
	v_add_f16_e32 v20, v20, v23
	v_fmamk_f16 v23, v44, 0x3b9c, v42
	v_add_f16_e32 v49, v49, v113
	v_fmamk_f16 v113, v19, 0xbb9c, v50
	v_sub_f16_e32 v152, v125, v127
	v_sub_f16_e32 v125, v127, v125
	v_add_f16_e32 v52, v56, v110
	v_add_f16_e32 v56, v124, v126
	v_fmamk_f16 v126, v45, 0xbb9c, v16
	v_fmac_f16_e32 v16, 0x3b9c, v45
	v_fmamk_f16 v127, v55, 0x3b9c, v3
	v_fmac_f16_e32 v3, 0xbb9c, v55
	v_fmac_f16_e32 v42, 0xbb9c, v44
	v_fmac_f16_e32 v50, 0x3b9c, v19
	v_sub_f16_e32 v137, v123, v121
	v_sub_f16_e32 v139, v121, v123
	v_add_f16_e32 v21, v21, v36
	v_fmamk_f16 v36, v120, 0x3b9c, v54
	v_add_f16_e32 v111, v111, v121
	v_fmamk_f16 v121, v34, 0xbb9c, v112
	v_sub_f16_e32 v145, v40, v39
	v_sub_f16_e32 v148, v39, v40
	;; [unrolled: 1-line block ×4, first 2 shown]
	v_add_f16_e32 v110, v130, v132
	v_fmamk_f16 v128, v122, 0xbb9c, v17
	v_fmac_f16_e32 v17, 0x3b9c, v122
	v_fmamk_f16 v130, v135, 0x3b9c, v46
	v_fmac_f16_e32 v46, 0xbb9c, v135
	v_add_f16_e32 v22, v22, v39
	v_fmamk_f16 v39, v142, 0x3b9c, v37
	v_fmac_f16_e32 v37, 0xbb9c, v142
	v_add_f16_e32 v119, v119, v129
	v_fmamk_f16 v129, v35, 0xbb9c, v109
	v_fmac_f16_e32 v109, 0x3b9c, v35
	v_fmac_f16_e32 v54, 0xbb9c, v120
	;; [unrolled: 1-line block ×3, first 2 shown]
	v_fmamk_f16 v132, v143, 0xbb9c, v18
	v_fmac_f16_e32 v18, 0x3b9c, v143
	v_fmamk_f16 v133, v151, 0x3b9c, v51
	v_fmac_f16_e32 v51, 0xbb9c, v151
	v_fmac_f16_e32 v23, 0x38b4, v45
	;; [unrolled: 1-line block ×9, first 2 shown]
	v_add_f16_e32 v114, v136, v137
	v_fmac_f16_e32 v36, 0x38b4, v122
	v_fmac_f16_e32 v121, 0xb8b4, v135
	v_add_f16_e32 v116, v117, v139
	v_add_f16_e32 v117, v144, v145
	;; [unrolled: 1-line block ×3, first 2 shown]
	v_fmac_f16_e32 v128, 0x38b4, v120
	v_fmac_f16_e32 v17, 0xb8b4, v120
	;; [unrolled: 1-line block ×8, first 2 shown]
	v_add_f16_e32 v118, v147, v148
	v_add_f16_e32 v125, v125, v155
	;; [unrolled: 1-line block ×5, first 2 shown]
	v_fmac_f16_e32 v54, 0xb8b4, v122
	v_add_f16_e32 v21, v111, v123
	v_fmac_f16_e32 v112, 0x38b4, v135
	v_add_f16_e32 v22, v22, v40
	v_fmac_f16_e32 v132, 0x38b4, v142
	v_fmac_f16_e32 v18, 0xb8b4, v142
	v_add_f16_e32 v33, v119, v131
	v_fmac_f16_e32 v133, 0xb8b4, v35
	v_fmac_f16_e32 v51, 0x38b4, v35
	;; [unrolled: 1-line block ×26, first 2 shown]
	v_pack_b32_f16 v20, v20, v32
	v_pack_b32_f16 v19, v19, v21
	v_pack_b32_f16 v21, v22, v33
	v_pack_b32_f16 v22, v23, v113
	v_pack_b32_f16 v23, v126, v127
	v_pack_b32_f16 v3, v16, v3
	v_pack_b32_f16 v16, v42, v50
	v_pack_b32_f16 v32, v36, v121
	v_pack_b32_f16 v33, v128, v130
	v_pack_b32_f16 v17, v17, v46
	v_pack_b32_f16 v35, v39, v129
	v_pack_b32_f16 v39, v37, v109
	v_pack_b32_f16 v34, v54, v112
	v_pack_b32_f16 v36, v132, v133
	v_pack_b32_f16 v18, v18, v51
	ds_write2_b32 v105, v20, v22 offset1:24
	ds_write2_b32 v105, v23, v3 offset0:48 offset1:72
	ds_write_b32 v105, v16 offset:384
	ds_write2_b32 v101, v19, v32 offset1:24
	ds_write2_b32 v101, v33, v17 offset0:48 offset1:72
	ds_write_b32 v101, v34 offset:384
	;; [unrolled: 3-line block ×3, first 2 shown]
	s_waitcnt lgkmcnt(0)
	s_barrier
	buffer_gl0_inv
	ds_read2_b32 v[39:40], v57 offset1:56
	ds_read2_b32 v[55:56], v57 offset0:120 offset1:176
	ds_read2_b32 v[53:54], v2 offset0:112 offset1:168
	;; [unrolled: 1-line block ×6, first 2 shown]
                                        ; implicit-def: $vgpr42
                                        ; implicit-def: $vgpr111
                                        ; implicit-def: $vgpr44
                                        ; implicit-def: $vgpr112
                                        ; implicit-def: $vgpr110
                                        ; implicit-def: $vgpr113
                                        ; implicit-def: $vgpr114
                                        ; implicit-def: $vgpr115
	s_and_saveexec_b32 s1, s0
	s_cbranch_execz .LBB0_17
; %bb.16:
	ds_read2_b32 v[37:38], v57 offset0:112 offset1:232
	ds_read2_b32 v[41:42], v1 offset0:96 offset1:216
	;; [unrolled: 1-line block ×3, first 2 shown]
	ds_read_b32 v110, v57 offset:3328
	s_waitcnt lgkmcnt(3)
	v_lshrrev_b32_e32 v109, 16, v37
	v_lshrrev_b32_e32 v108, 16, v38
	s_waitcnt lgkmcnt(2)
	v_lshrrev_b32_e32 v115, 16, v41
	v_lshrrev_b32_e32 v111, 16, v42
	;; [unrolled: 3-line block ×3, first 2 shown]
	s_waitcnt lgkmcnt(0)
	v_lshrrev_b32_e32 v113, 16, v110
.LBB0_17:
	s_or_b32 exec_lo, exec_lo, s1
	v_mad_u64_u32 v[0:1], null, v69, 24, s[2:3]
	s_waitcnt lgkmcnt(5)
	v_lshrrev_b32_e32 v116, 16, v55
	s_waitcnt lgkmcnt(4)
	v_lshrrev_b32_e32 v117, 16, v53
	s_waitcnt lgkmcnt(3)
	v_lshrrev_b32_e32 v118, 16, v51
	s_waitcnt lgkmcnt(2)
	v_lshrrev_b32_e32 v119, 16, v49
	s_waitcnt lgkmcnt(1)
	v_lshrrev_b32_e32 v120, 16, v47
	s_waitcnt lgkmcnt(0)
	v_lshrrev_b32_e32 v121, 16, v45
	s_clause 0x3
	global_load_dwordx4 v[20:23], v[0:1], off offset:472
	global_load_dwordx2 v[35:36], v[0:1], off offset:488
	global_load_dwordx4 v[16:19], v[0:1], off offset:1816
	global_load_dwordx2 v[33:34], v[0:1], off offset:1832
	v_add_nc_u32_e32 v0, -8, v69
	v_lshrrev_b32_e32 v122, 16, v56
	v_lshrrev_b32_e32 v123, 16, v54
	;; [unrolled: 1-line block ×4, first 2 shown]
	v_cndmask_b32_e64 v0, v0, v31, s0
	v_lshrrev_b32_e32 v126, 16, v48
	v_lshrrev_b32_e32 v127, 16, v46
	v_mul_i32_i24_e32 v1, 24, v0
	v_mul_hi_i32_i24_e32 v0, 24, v0
	v_add_co_u32 v31, s1, s2, v1
	v_add_co_ci_u32_e64 v32, s1, s3, v0, s1
	s_clause 0x1
	global_load_dwordx4 v[0:3], v[31:32], off offset:472
	global_load_dwordx2 v[31:32], v[31:32], off offset:488
	s_waitcnt vmcnt(5)
	v_mul_f16_sdwa v128, v116, v20 dst_sel:DWORD dst_unused:UNUSED_PAD src0_sel:DWORD src1_sel:WORD_1
	v_mul_f16_sdwa v129, v55, v20 dst_sel:DWORD dst_unused:UNUSED_PAD src0_sel:DWORD src1_sel:WORD_1
	;; [unrolled: 1-line block ×8, first 2 shown]
	s_waitcnt vmcnt(4)
	v_mul_f16_sdwa v136, v120, v35 dst_sel:DWORD dst_unused:UNUSED_PAD src0_sel:DWORD src1_sel:WORD_1
	v_mul_f16_sdwa v137, v47, v35 dst_sel:DWORD dst_unused:UNUSED_PAD src0_sel:DWORD src1_sel:WORD_1
	;; [unrolled: 1-line block ×4, first 2 shown]
	s_waitcnt vmcnt(3)
	v_mul_f16_sdwa v140, v122, v16 dst_sel:DWORD dst_unused:UNUSED_PAD src0_sel:DWORD src1_sel:WORD_1
	v_mul_f16_sdwa v141, v56, v16 dst_sel:DWORD dst_unused:UNUSED_PAD src0_sel:DWORD src1_sel:WORD_1
	v_mul_f16_sdwa v142, v123, v17 dst_sel:DWORD dst_unused:UNUSED_PAD src0_sel:DWORD src1_sel:WORD_1
	v_mul_f16_sdwa v143, v54, v17 dst_sel:DWORD dst_unused:UNUSED_PAD src0_sel:DWORD src1_sel:WORD_1
	v_mul_f16_sdwa v144, v124, v18 dst_sel:DWORD dst_unused:UNUSED_PAD src0_sel:DWORD src1_sel:WORD_1
	v_mul_f16_sdwa v145, v52, v18 dst_sel:DWORD dst_unused:UNUSED_PAD src0_sel:DWORD src1_sel:WORD_1
	v_mul_f16_sdwa v146, v125, v19 dst_sel:DWORD dst_unused:UNUSED_PAD src0_sel:DWORD src1_sel:WORD_1
	v_mul_f16_sdwa v147, v50, v19 dst_sel:DWORD dst_unused:UNUSED_PAD src0_sel:DWORD src1_sel:WORD_1
	s_waitcnt vmcnt(2)
	v_mul_f16_sdwa v148, v126, v33 dst_sel:DWORD dst_unused:UNUSED_PAD src0_sel:DWORD src1_sel:WORD_1
	v_mul_f16_sdwa v149, v48, v33 dst_sel:DWORD dst_unused:UNUSED_PAD src0_sel:DWORD src1_sel:WORD_1
	;; [unrolled: 1-line block ×4, first 2 shown]
	v_fma_f16 v55, v55, v20, -v128
	v_fmac_f16_e32 v129, v116, v20
	v_fma_f16 v53, v53, v21, -v130
	v_fmac_f16_e32 v131, v117, v21
	;; [unrolled: 2-line block ×12, first 2 shown]
	v_add_f16_e32 v116, v55, v45
	v_add_f16_e32 v117, v129, v139
	v_sub_f16_e32 v45, v55, v45
	v_sub_f16_e32 v55, v129, v139
	v_add_f16_e32 v118, v53, v47
	v_add_f16_e32 v119, v131, v137
	v_sub_f16_e32 v47, v53, v47
	v_sub_f16_e32 v53, v131, v137
	;; [unrolled: 4-line block ×6, first 2 shown]
	s_waitcnt vmcnt(1)
	v_mul_f16_sdwa v128, v108, v0 dst_sel:DWORD dst_unused:UNUSED_PAD src0_sel:DWORD src1_sel:WORD_1
	v_mul_f16_sdwa v129, v38, v0 dst_sel:DWORD dst_unused:UNUSED_PAD src0_sel:DWORD src1_sel:WORD_1
	;; [unrolled: 1-line block ×4, first 2 shown]
	s_waitcnt vmcnt(0)
	v_mul_f16_sdwa v136, v112, v31 dst_sel:DWORD dst_unused:UNUSED_PAD src0_sel:DWORD src1_sel:WORD_1
	v_mul_f16_sdwa v137, v44, v31 dst_sel:DWORD dst_unused:UNUSED_PAD src0_sel:DWORD src1_sel:WORD_1
	;; [unrolled: 1-line block ×8, first 2 shown]
	v_add_f16_e32 v140, v118, v116
	v_add_f16_e32 v141, v119, v117
	v_sub_f16_e32 v142, v118, v116
	v_sub_f16_e32 v143, v119, v117
	;; [unrolled: 1-line block ×5, first 2 shown]
	v_add_f16_e32 v144, v49, v47
	v_add_f16_e32 v145, v51, v53
	v_sub_f16_e32 v146, v49, v47
	v_sub_f16_e32 v147, v51, v53
	;; [unrolled: 1-line block ×4, first 2 shown]
	v_add_f16_e32 v148, v124, v122
	v_add_f16_e32 v149, v125, v123
	v_sub_f16_e32 v150, v124, v122
	v_sub_f16_e32 v151, v125, v123
	;; [unrolled: 1-line block ×6, first 2 shown]
	v_add_f16_e32 v152, v50, v48
	v_add_f16_e32 v153, v52, v54
	v_sub_f16_e32 v154, v50, v48
	v_sub_f16_e32 v155, v52, v54
	;; [unrolled: 1-line block ×4, first 2 shown]
	v_fma_f16 v38, v38, v0, -v128
	v_fmac_f16_e32 v129, v108, v0
	v_fma_f16 v41, v41, v1, -v130
	v_fmac_f16_e32 v131, v115, v1
	;; [unrolled: 2-line block ×4, first 2 shown]
	v_sub_f16_e32 v119, v121, v119
	v_sub_f16_e32 v49, v45, v49
	;; [unrolled: 1-line block ×5, first 2 shown]
	v_fma_f16 v42, v42, v2, -v132
	v_fmac_f16_e32 v133, v111, v2
	v_fma_f16 v43, v43, v3, -v134
	v_fmac_f16_e32 v135, v114, v3
	v_add_f16_e32 v110, v120, v140
	v_add_f16_e32 v111, v121, v141
	v_mul_f16_e32 v112, 0x3a52, v116
	v_mul_f16_e32 v113, 0x3a52, v117
	;; [unrolled: 1-line block ×7, first 2 shown]
	v_add_f16_e32 v126, v126, v148
	v_add_f16_e32 v127, v127, v149
	v_mul_f16_e32 v122, 0x3a52, v122
	v_mul_f16_e32 v123, 0x3a52, v123
	;; [unrolled: 1-line block ×8, first 2 shown]
	v_add_f16_e32 v140, v38, v108
	v_add_f16_e32 v141, v129, v139
	v_sub_f16_e32 v38, v38, v108
	v_sub_f16_e32 v108, v129, v139
	v_add_f16_e32 v129, v41, v44
	v_add_f16_e32 v139, v131, v137
	;; [unrolled: 1-line block ×4, first 2 shown]
	v_mul_f16_e32 v115, 0x2b26, v119
	v_add_f16_e32 v46, v152, v46
	v_add_f16_e32 v56, v153, v56
	v_sub_f16_e32 v41, v41, v44
	v_sub_f16_e32 v44, v131, v137
	v_add_f16_e32 v131, v42, v43
	v_add_f16_e32 v137, v133, v135
	v_sub_f16_e32 v42, v43, v42
	v_sub_f16_e32 v43, v135, v133
	v_add_f16_e32 v133, v39, v110
	v_add_f16_sdwa v39, v39, v111 dst_sel:DWORD dst_unused:UNUSED_PAD src0_sel:WORD_1 src1_sel:DWORD
	v_fmamk_f16 v118, v118, 0x2b26, v112
	v_fma_f16 v114, v142, 0x39e0, -v114
	v_fma_f16 v112, v142, 0xb9e0, -v112
	v_fmamk_f16 v135, v49, 0x3574, v116
	v_fmamk_f16 v142, v51, 0x3574, v117
	v_fma_f16 v47, v47, 0x3b00, -v116
	v_fma_f16 v53, v53, 0x3b00, -v117
	;; [unrolled: 1-line block ×4, first 2 shown]
	v_add_f16_e32 v116, v40, v126
	v_add_f16_sdwa v40, v40, v127 dst_sel:DWORD dst_unused:UNUSED_PAD src0_sel:WORD_1 src1_sel:DWORD
	v_fmamk_f16 v117, v124, 0x2b26, v122
	v_fmamk_f16 v120, v125, 0x2b26, v123
	v_fma_f16 v121, v150, 0x39e0, -v128
	v_fma_f16 v124, v151, 0x39e0, -v130
	v_fmamk_f16 v125, v50, 0x3574, v132
	v_fmamk_f16 v128, v52, 0x3574, v134
	v_fma_f16 v48, v48, 0x3b00, -v132
	v_fma_f16 v54, v54, 0x3b00, -v134
	;; [unrolled: 1-line block ×4, first 2 shown]
	v_add_f16_e32 v130, v129, v140
	v_add_f16_e32 v132, v139, v141
	v_fmamk_f16 v119, v119, 0x2b26, v113
	v_fma_f16 v115, v143, 0x39e0, -v115
	v_fma_f16 v113, v143, 0xb9e0, -v113
	;; [unrolled: 1-line block ×4, first 2 shown]
	v_sub_f16_e32 v134, v129, v140
	v_sub_f16_e32 v136, v139, v141
	;; [unrolled: 1-line block ×6, first 2 shown]
	v_add_f16_e32 v141, v42, v41
	v_add_f16_e32 v143, v43, v44
	v_sub_f16_e32 v144, v42, v41
	v_sub_f16_e32 v145, v43, v44
	;; [unrolled: 1-line block ×4, first 2 shown]
	v_fmamk_f16 v110, v110, 0xbcab, v133
	v_fmamk_f16 v111, v111, 0xbcab, v39
	v_fmac_f16_e32 v135, 0x370e, v45
	v_fmac_f16_e32 v142, 0x370e, v55
	;; [unrolled: 1-line block ×6, first 2 shown]
	v_fmamk_f16 v45, v126, 0xbcab, v116
	v_fmamk_f16 v55, v127, 0xbcab, v40
	v_fmac_f16_e32 v125, 0x370e, v46
	v_fmac_f16_e32 v128, 0x370e, v56
	;; [unrolled: 1-line block ×6, first 2 shown]
	v_add_f16_e32 v46, v131, v130
	v_add_f16_e32 v56, v137, v132
	v_sub_f16_e32 v42, v38, v42
	v_sub_f16_e32 v43, v108, v43
	v_pack_b32_f16 v39, v133, v39
	v_pack_b32_f16 v40, v116, v40
	v_mul_f16_e32 v116, 0x3a52, v138
	v_mul_f16_e32 v126, 0x3a52, v140
	;; [unrolled: 1-line block ×8, first 2 shown]
	v_add_f16_e32 v118, v118, v110
	v_add_f16_e32 v119, v119, v111
	;; [unrolled: 1-line block ×16, first 2 shown]
	v_fmamk_f16 v37, v129, 0x2b26, v116
	v_fmamk_f16 v109, v139, 0x2b26, v126
	v_fma_f16 v122, v134, 0x39e0, -v127
	v_fma_f16 v123, v136, 0x39e0, -v130
	;; [unrolled: 1-line block ×4, first 2 shown]
	v_fmamk_f16 v127, v42, 0x3574, v131
	v_fmamk_f16 v129, v43, 0x3574, v132
	v_fma_f16 v41, v41, 0x3b00, -v131
	v_fma_f16 v44, v44, 0x3b00, -v132
	;; [unrolled: 1-line block ×4, first 2 shown]
	v_add_f16_e32 v130, v142, v118
	v_sub_f16_e32 v131, v119, v135
	v_add_f16_e32 v132, v51, v110
	v_sub_f16_e32 v133, v111, v49
	v_sub_f16_e32 v51, v110, v51
	v_add_f16_e32 v49, v49, v111
	v_sub_f16_e32 v110, v118, v142
	v_add_f16_e32 v111, v135, v119
	v_add_f16_e32 v118, v52, v45
	v_sub_f16_e32 v119, v55, v50
	v_sub_f16_e32 v135, v121, v54
	v_add_f16_e32 v137, v48, v124
	v_add_f16_e32 v54, v54, v121
	v_sub_f16_e32 v48, v124, v48
	v_sub_f16_e32 v45, v45, v52
	v_add_f16_e32 v50, v50, v55
	v_sub_f16_e32 v52, v117, v128
	v_add_f16_e32 v55, v125, v120
	v_fmamk_f16 v46, v46, 0xbcab, v112
	v_fmamk_f16 v56, v56, 0xbcab, v113
	v_sub_f16_e32 v134, v114, v53
	v_add_f16_e32 v136, v47, v115
	v_add_f16_e32 v53, v53, v114
	v_sub_f16_e32 v47, v115, v47
	v_add_f16_e32 v114, v128, v117
	v_sub_f16_e32 v115, v120, v125
	v_fmac_f16_e32 v127, 0x370e, v38
	v_fmac_f16_e32 v129, 0x370e, v108
	;; [unrolled: 1-line block ×6, first 2 shown]
	v_pack_b32_f16 v38, v130, v131
	v_pack_b32_f16 v49, v51, v49
	;; [unrolled: 1-line block ×6, first 2 shown]
	v_add_f16_e32 v52, v37, v46
	v_add_f16_e32 v54, v109, v56
	;; [unrolled: 1-line block ×6, first 2 shown]
	v_pack_b32_f16 v108, v132, v133
	v_pack_b32_f16 v117, v134, v136
	v_pack_b32_f16 v47, v53, v47
	v_pack_b32_f16 v53, v114, v115
	v_pack_b32_f16 v118, v118, v119
	ds_write_b32 v57, v38 offset:480
	ds_write_b32 v57, v108 offset:960
	;; [unrolled: 1-line block ×6, first 2 shown]
	ds_write2_b32 v57, v39, v40 offset1:56
	ds_write_b32 v57, v53 offset:704
	v_add_f16_e32 v114, v129, v52
	v_sub_f16_e32 v115, v54, v127
	v_add_f16_e32 v37, v43, v46
	v_sub_f16_e32 v55, v111, v42
	v_sub_f16_e32 v38, v109, v44
	v_add_f16_e32 v56, v41, v110
	v_add_f16_e32 v39, v44, v109
	v_sub_f16_e32 v108, v110, v41
	v_sub_f16_e32 v40, v46, v43
	v_add_f16_e32 v109, v42, v111
	v_sub_f16_e32 v110, v52, v129
	v_add_f16_e32 v111, v127, v54
	v_pack_b32_f16 v119, v135, v137
	ds_write_b32 v57, v118 offset:1184
	ds_write_b32 v57, v119 offset:1664
	;; [unrolled: 1-line block ×5, first 2 shown]
	s_and_saveexec_b32 s1, s0
	s_cbranch_execz .LBB0_19
; %bb.18:
	v_perm_b32 v41, v113, v112, 0x5040100
	v_perm_b32 v42, v115, v114, 0x5040100
	;; [unrolled: 1-line block ×4, first 2 shown]
	v_add_nc_u32_e32 v45, 0x400, v57
	v_perm_b32 v46, v108, v39, 0x5040100
	v_perm_b32 v47, v109, v40, 0x5040100
	v_add_nc_u32_e32 v48, 0x800, v57
	v_perm_b32 v49, v111, v110, 0x5040100
	ds_write2_b32 v57, v41, v42 offset0:112 offset1:232
	ds_write2_b32 v45, v43, v44 offset0:96 offset1:216
	;; [unrolled: 1-line block ×3, first 2 shown]
	ds_write_b32 v57, v49 offset:3328
.LBB0_19:
	s_or_b32 exec_lo, exec_lo, s1
	s_waitcnt lgkmcnt(0)
	s_barrier
	buffer_gl0_inv
	global_load_dword v47, v[24:25], off offset:1312
	v_add_co_u32 v41, s1, 0xd20, v26
	v_add_co_ci_u32_e64 v42, s1, 0, v27, s1
	s_clause 0x1
	global_load_dword v50, v[41:42], off offset:224
	global_load_dword v122, v[41:42], off offset:1680
	v_add_co_u32 v43, s1, 0x1000, v26
	v_add_co_ci_u32_e64 v44, s1, 0, v27, s1
	v_add_co_u32 v45, s1, 0x1800, v26
	s_clause 0x5
	global_load_dword v123, v[41:42], off offset:1904
	global_load_dword v124, v[41:42], off offset:448
	global_load_dword v125, v[43:44], off offset:1392
	global_load_dword v126, v[43:44], off offset:1616
	global_load_dword v127, v[41:42], off offset:672
	global_load_dword v128, v[41:42], off offset:896
	v_add_co_ci_u32_e64 v46, s1, 0, v27, s1
	s_clause 0x4
	global_load_dword v129, v[43:44], off offset:1840
	global_load_dword v130, v[41:42], off offset:1120
	;; [unrolled: 1-line block ×5, first 2 shown]
	ds_read2_b32 v[44:45], v57 offset1:56
	v_add_nc_u32_e32 v51, 0x800, v57
	v_add_nc_u32_e32 v52, 0x200, v57
	s_waitcnt lgkmcnt(0)
	v_lshrrev_b32_e32 v43, 16, v44
	v_lshrrev_b32_e32 v120, 16, v45
	s_waitcnt vmcnt(13)
	v_mul_f16_sdwa v46, v43, v47 dst_sel:DWORD dst_unused:UNUSED_PAD src0_sel:DWORD src1_sel:WORD_1
	v_mul_f16_sdwa v48, v44, v47 dst_sel:DWORD dst_unused:UNUSED_PAD src0_sel:DWORD src1_sel:WORD_1
	v_fma_f16 v44, v44, v47, -v46
	v_fmac_f16_e32 v48, v43, v47
	v_add_nc_u32_e32 v43, 0x400, v57
	s_waitcnt vmcnt(12)
	v_mul_f16_sdwa v121, v120, v50 dst_sel:DWORD dst_unused:UNUSED_PAD src0_sel:DWORD src1_sel:WORD_1
	v_mul_f16_sdwa v134, v45, v50 dst_sel:DWORD dst_unused:UNUSED_PAD src0_sel:DWORD src1_sel:WORD_1
	v_pack_b32_f16 v46, v44, v48
	v_add_nc_u32_e32 v44, 0x600, v57
	v_fma_f16 v45, v45, v50, -v121
	v_fmac_f16_e32 v134, v120, v50
	ds_write_b32 v57, v46
	ds_read2_b32 v[46:47], v43 offset0:80 offset1:164
	ds_read2_b32 v[48:49], v44 offset0:92 offset1:148
	;; [unrolled: 1-line block ×6, first 2 shown]
	v_pack_b32_f16 v45, v45, v134
	s_waitcnt lgkmcnt(5)
	v_lshrrev_b32_e32 v50, 16, v47
	s_waitcnt vmcnt(11)
	v_mul_f16_sdwa v134, v47, v122 dst_sel:DWORD dst_unused:UNUSED_PAD src0_sel:DWORD src1_sel:WORD_1
	s_waitcnt lgkmcnt(4)
	v_lshrrev_b32_e32 v135, 16, v48
	s_waitcnt vmcnt(10)
	v_mul_f16_sdwa v136, v48, v123 dst_sel:DWORD dst_unused:UNUSED_PAD src0_sel:DWORD src1_sel:WORD_1
	;; [unrolled: 4-line block ×3, first 2 shown]
	v_lshrrev_b32_e32 v139, 16, v49
	s_waitcnt vmcnt(8)
	v_mul_f16_sdwa v140, v49, v125 dst_sel:DWORD dst_unused:UNUSED_PAD src0_sel:DWORD src1_sel:WORD_1
	v_lshrrev_b32_e32 v141, 16, v54
	s_waitcnt vmcnt(6)
	v_mul_f16_sdwa v142, v54, v127 dst_sel:DWORD dst_unused:UNUSED_PAD src0_sel:DWORD src1_sel:WORD_1
	s_waitcnt lgkmcnt(2)
	v_lshrrev_b32_e32 v143, 16, v116
	v_mul_f16_sdwa v144, v116, v126 dst_sel:DWORD dst_unused:UNUSED_PAD src0_sel:DWORD src1_sel:WORD_1
	s_waitcnt lgkmcnt(1)
	v_lshrrev_b32_e32 v145, 16, v118
	s_waitcnt vmcnt(5)
	v_mul_f16_sdwa v146, v118, v128 dst_sel:DWORD dst_unused:UNUSED_PAD src0_sel:DWORD src1_sel:WORD_1
	v_lshrrev_b32_e32 v147, 16, v117
	s_waitcnt vmcnt(4)
	v_mul_f16_sdwa v148, v117, v129 dst_sel:DWORD dst_unused:UNUSED_PAD src0_sel:DWORD src1_sel:WORD_1
	;; [unrolled: 3-line block ×3, first 2 shown]
	s_waitcnt lgkmcnt(0)
	v_lshrrev_b32_e32 v151, 16, v120
	s_waitcnt vmcnt(2)
	v_mul_f16_sdwa v152, v120, v131 dst_sel:DWORD dst_unused:UNUSED_PAD src0_sel:DWORD src1_sel:WORD_1
	v_lshrrev_b32_e32 v153, 16, v46
	s_waitcnt vmcnt(1)
	v_mul_f16_sdwa v154, v46, v132 dst_sel:DWORD dst_unused:UNUSED_PAD src0_sel:DWORD src1_sel:WORD_1
	v_lshrrev_b32_e32 v155, 16, v121
	v_mul_f16_sdwa v157, v50, v122 dst_sel:DWORD dst_unused:UNUSED_PAD src0_sel:DWORD src1_sel:WORD_1
	v_fmac_f16_e32 v134, v50, v122
	v_mul_f16_sdwa v50, v135, v123 dst_sel:DWORD dst_unused:UNUSED_PAD src0_sel:DWORD src1_sel:WORD_1
	v_fmac_f16_e32 v136, v135, v123
	;; [unrolled: 2-line block ×9, first 2 shown]
	v_mul_f16_sdwa v149, v151, v131 dst_sel:DWORD dst_unused:UNUSED_PAD src0_sel:DWORD src1_sel:WORD_1
	s_waitcnt vmcnt(0)
	v_mul_f16_sdwa v156, v121, v133 dst_sel:DWORD dst_unused:UNUSED_PAD src0_sel:DWORD src1_sel:WORD_1
	v_fmac_f16_e32 v152, v151, v131
	v_mul_f16_sdwa v151, v153, v132 dst_sel:DWORD dst_unused:UNUSED_PAD src0_sel:DWORD src1_sel:WORD_1
	v_fmac_f16_e32 v154, v153, v132
	v_mul_f16_sdwa v153, v155, v133 dst_sel:DWORD dst_unused:UNUSED_PAD src0_sel:DWORD src1_sel:WORD_1
	v_fma_f16 v47, v47, v122, -v157
	v_fma_f16 v48, v48, v123, -v50
	;; [unrolled: 1-line block ×10, first 2 shown]
	v_fmac_f16_e32 v156, v155, v133
	v_fma_f16 v46, v46, v132, -v151
	v_fma_f16 v120, v121, v133, -v153
	v_pack_b32_f16 v47, v47, v134
	v_pack_b32_f16 v48, v48, v136
	;; [unrolled: 1-line block ×12, first 2 shown]
	ds_write2_b32 v43, v47, v48 offset0:164 offset1:220
	ds_write2_b32 v57, v45, v50 offset0:56 offset1:112
	;; [unrolled: 1-line block ×6, first 2 shown]
	ds_write_b32 v57, v120 offset:3024
	s_and_saveexec_b32 s2, vcc_lo
	s_cbranch_execz .LBB0_21
; %bb.20:
	v_add_co_u32 v45, s1, 0x800, v41
	v_add_co_ci_u32_e64 v46, s1, 0, v42, s1
	s_clause 0x1
	global_load_dword v41, v[41:42], off offset:1568
	global_load_dword v42, v[45:46], off offset:1200
	ds_read_b32 v45, v57 offset:1568
	ds_read_b32 v46, v57 offset:3248
	s_waitcnt lgkmcnt(1)
	v_lshrrev_b32_e32 v47, 16, v45
	s_waitcnt lgkmcnt(0)
	v_lshrrev_b32_e32 v48, 16, v46
	s_waitcnt vmcnt(1)
	v_mul_f16_sdwa v49, v47, v41 dst_sel:DWORD dst_unused:UNUSED_PAD src0_sel:DWORD src1_sel:WORD_1
	v_mul_f16_sdwa v50, v45, v41 dst_sel:DWORD dst_unused:UNUSED_PAD src0_sel:DWORD src1_sel:WORD_1
	s_waitcnt vmcnt(0)
	v_mul_f16_sdwa v53, v48, v42 dst_sel:DWORD dst_unused:UNUSED_PAD src0_sel:DWORD src1_sel:WORD_1
	v_mul_f16_sdwa v54, v46, v42 dst_sel:DWORD dst_unused:UNUSED_PAD src0_sel:DWORD src1_sel:WORD_1
	v_fma_f16 v45, v45, v41, -v49
	v_fmac_f16_e32 v50, v47, v41
	v_fma_f16 v41, v46, v42, -v53
	v_fmac_f16_e32 v54, v48, v42
	v_pack_b32_f16 v42, v45, v50
	v_pack_b32_f16 v41, v41, v54
	ds_write_b32 v57, v42 offset:1568
	ds_write_b32 v57, v41 offset:3248
.LBB0_21:
	s_or_b32 exec_lo, exec_lo, s2
	s_waitcnt lgkmcnt(0)
	s_barrier
	buffer_gl0_inv
	ds_read2_b32 v[47:48], v57 offset1:56
	ds_read2_b32 v[41:42], v43 offset0:80 offset1:164
	ds_read2_b32 v[53:54], v44 offset0:92 offset1:148
	;; [unrolled: 1-line block ×6, first 2 shown]
	v_lshlrev_b32_e32 v117, 2, v91
	v_lshlrev_b32_e32 v116, 2, v92
	s_and_saveexec_b32 s1, vcc_lo
	s_cbranch_execz .LBB0_23
; %bb.22:
	ds_read_b32 v112, v57 offset:1568
	ds_read_b32 v114, v57 offset:3248
	s_waitcnt lgkmcnt(1)
	v_lshrrev_b32_e32 v113, 16, v112
	s_waitcnt lgkmcnt(0)
	v_lshrrev_b32_e32 v115, 16, v114
.LBB0_23:
	s_or_b32 exec_lo, exec_lo, s1
	s_waitcnt lgkmcnt(5)
	v_pk_add_f16 v119, v47, v42 neg_lo:[0,1] neg_hi:[0,1]
	s_waitcnt lgkmcnt(4)
	v_pk_add_f16 v53, v48, v53 neg_lo:[0,1] neg_hi:[0,1]
	;; [unrolled: 2-line block ×3, first 2 shown]
	v_sub_f16_e32 v114, v112, v114
	v_sub_f16_e32 v115, v113, v115
	v_pk_fma_f16 v118, v47, 2.0, v119 op_sel_hi:[1,0,1] neg_lo:[0,0,1] neg_hi:[0,0,1]
	s_waitcnt lgkmcnt(2)
	v_pk_add_f16 v49, v46, v49 neg_lo:[0,1] neg_hi:[0,1]
	s_waitcnt lgkmcnt(0)
	v_pk_add_f16 v42, v41, v52 neg_lo:[0,1] neg_hi:[0,1]
	v_pk_fma_f16 v52, v48, 2.0, v53 op_sel_hi:[1,0,1] neg_lo:[0,0,1] neg_hi:[0,0,1]
	v_pk_add_f16 v120, v43, v50 neg_lo:[0,1] neg_hi:[0,1]
	v_pk_add_f16 v51, v44, v51 neg_lo:[0,1] neg_hi:[0,1]
	v_fma_f16 v91, v112, 2.0, -v114
	v_fma_f16 v92, v113, 2.0, -v115
	s_barrier
	buffer_gl0_inv
	ds_write_b64 v78, v[118:119]
	ds_write_b64 v80, v[52:53]
	v_pk_fma_f16 v53, v45, 2.0, v54 op_sel_hi:[1,0,1] neg_lo:[0,0,1] neg_hi:[0,0,1]
	v_pk_fma_f16 v48, v46, 2.0, v49 op_sel_hi:[1,0,1] neg_lo:[0,0,1] neg_hi:[0,0,1]
	;; [unrolled: 1-line block ×5, first 2 shown]
	ds_write_b64 v77, v[53:54]
	ds_write_b64 v79, v[48:49]
	ds_write_b64 v81, v[119:120]
	ds_write_b64 v117, v[50:51]
	ds_write_b64 v116, v[41:42]
	s_and_saveexec_b32 s1, vcc_lo
	s_cbranch_execz .LBB0_25
; %bb.24:
	v_perm_b32 v42, v115, v114, 0x5040100
	v_perm_b32 v41, v92, v91, 0x5040100
	ds_write_b64 v82, v[41:42]
.LBB0_25:
	s_or_b32 exec_lo, exec_lo, s1
	v_add_nc_u32_e32 v41, 0x400, v57
	v_add_nc_u32_e32 v43, 0x600, v57
	;; [unrolled: 1-line block ×4, first 2 shown]
	s_waitcnt lgkmcnt(0)
	s_barrier
	buffer_gl0_inv
	ds_read2_b32 v[45:46], v57 offset1:56
	ds_read2_b32 v[41:42], v41 offset0:80 offset1:164
	ds_read2_b32 v[53:54], v43 offset0:92 offset1:148
	;; [unrolled: 1-line block ×6, first 2 shown]
	s_and_saveexec_b32 s1, vcc_lo
	s_cbranch_execz .LBB0_27
; %bb.26:
	ds_read_b32 v91, v57 offset:1568
	ds_read_b32 v114, v57 offset:3248
	s_waitcnt lgkmcnt(1)
	v_lshrrev_b32_e32 v92, 16, v91
	s_waitcnt lgkmcnt(0)
	v_lshrrev_b32_e32 v115, 16, v114
.LBB0_27:
	s_or_b32 exec_lo, exec_lo, s1
	s_waitcnt lgkmcnt(5)
	v_lshrrev_b32_e32 v78, 16, v42
	s_waitcnt lgkmcnt(4)
	v_lshrrev_b32_e32 v82, 16, v54
	v_lshrrev_b32_e32 v80, 16, v53
	v_mul_f16_sdwa v125, v75, v54 dst_sel:DWORD dst_unused:UNUSED_PAD src0_sel:WORD_1 src1_sel:DWORD
	s_waitcnt lgkmcnt(2)
	v_lshrrev_b32_e32 v113, 16, v51
	v_mul_f16_sdwa v119, v75, v78 dst_sel:DWORD dst_unused:UNUSED_PAD src0_sel:WORD_1 src1_sel:DWORD
	v_mul_f16_sdwa v124, v75, v82 dst_sel:DWORD dst_unused:UNUSED_PAD src0_sel:WORD_1 src1_sel:DWORD
	v_mul_f16_sdwa v121, v75, v42 dst_sel:DWORD dst_unused:UNUSED_PAD src0_sel:WORD_1 src1_sel:DWORD
	s_waitcnt lgkmcnt(0)
	v_lshrrev_b32_e32 v120, 16, v49
	v_lshrrev_b32_e32 v117, 16, v52
	v_fmac_f16_e32 v119, v75, v42
	v_mul_f16_sdwa v42, v75, v80 dst_sel:DWORD dst_unused:UNUSED_PAD src0_sel:WORD_1 src1_sel:DWORD
	v_fmac_f16_e32 v124, v75, v54
	v_fma_f16 v54, v75, v82, -v125
	v_mul_f16_sdwa v82, v75, v51 dst_sel:DWORD dst_unused:UNUSED_PAD src0_sel:WORD_1 src1_sel:DWORD
	v_fma_f16 v78, v75, v78, -v121
	v_mul_f16_sdwa v121, v75, v53 dst_sel:DWORD dst_unused:UNUSED_PAD src0_sel:WORD_1 src1_sel:DWORD
	v_fmac_f16_e32 v42, v75, v53
	v_mul_f16_sdwa v53, v75, v113 dst_sel:DWORD dst_unused:UNUSED_PAD src0_sel:WORD_1 src1_sel:DWORD
	v_lshrrev_b32_e32 v123, 16, v50
	v_mul_f16_sdwa v125, v75, v120 dst_sel:DWORD dst_unused:UNUSED_PAD src0_sel:WORD_1 src1_sel:DWORD
	v_fma_f16 v82, v75, v113, -v82
	v_mul_f16_sdwa v113, v75, v49 dst_sel:DWORD dst_unused:UNUSED_PAD src0_sel:WORD_1 src1_sel:DWORD
	v_fma_f16 v80, v75, v80, -v121
	v_fmac_f16_e32 v53, v75, v51
	v_mul_f16_sdwa v51, v75, v117 dst_sel:DWORD dst_unused:UNUSED_PAD src0_sel:WORD_1 src1_sel:DWORD
	v_mul_f16_sdwa v121, v75, v52 dst_sel:DWORD dst_unused:UNUSED_PAD src0_sel:WORD_1 src1_sel:DWORD
	v_lshrrev_b32_e32 v77, 16, v45
	v_fmac_f16_e32 v125, v75, v49
	v_mul_f16_sdwa v49, v75, v123 dst_sel:DWORD dst_unused:UNUSED_PAD src0_sel:WORD_1 src1_sel:DWORD
	v_fma_f16 v113, v75, v120, -v113
	v_mul_f16_sdwa v120, v75, v115 dst_sel:DWORD dst_unused:UNUSED_PAD src0_sel:WORD_1 src1_sel:DWORD
	v_lshrrev_b32_e32 v79, 16, v46
	v_fmac_f16_e32 v51, v75, v52
	v_fma_f16 v52, v75, v117, -v121
	v_mul_f16_sdwa v117, v75, v50 dst_sel:DWORD dst_unused:UNUSED_PAD src0_sel:WORD_1 src1_sel:DWORD
	v_lshrrev_b32_e32 v81, 16, v47
	v_mul_f16_sdwa v121, v75, v114 dst_sel:DWORD dst_unused:UNUSED_PAD src0_sel:WORD_1 src1_sel:DWORD
	v_fmac_f16_e32 v49, v75, v50
	v_sub_f16_e32 v50, v45, v119
	v_fmac_f16_e32 v120, v75, v114
	v_sub_f16_e32 v114, v77, v78
	v_lshrrev_b32_e32 v112, 16, v48
	v_sub_f16_e32 v42, v46, v42
	v_sub_f16_e32 v80, v79, v80
	v_lshrrev_b32_e32 v116, 16, v43
	v_lshrrev_b32_e32 v118, 16, v44
	;; [unrolled: 1-line block ×3, first 2 shown]
	v_fma_f16 v117, v75, v123, -v117
	v_fma_f16 v75, v75, v115, -v121
	v_fma_f16 v45, v45, 2.0, -v50
	v_sub_f16_e32 v115, v47, v124
	v_fma_f16 v119, v77, 2.0, -v114
	v_sub_f16_e32 v54, v81, v54
	v_fma_f16 v46, v46, 2.0, -v42
	v_fma_f16 v121, v79, 2.0, -v80
	v_sub_f16_e32 v53, v48, v53
	v_sub_f16_e32 v82, v112, v82
	;; [unrolled: 1-line block ×8, first 2 shown]
	v_fma_f16 v47, v47, 2.0, -v115
	v_fma_f16 v81, v81, 2.0, -v54
	v_sub_f16_e32 v79, v91, v120
	v_sub_f16_e32 v78, v92, v75
	v_pack_b32_f16 v45, v45, v119
	v_pack_b32_f16 v50, v50, v114
	v_fma_f16 v48, v48, 2.0, -v53
	v_fma_f16 v112, v112, 2.0, -v82
	v_pack_b32_f16 v46, v46, v121
	v_pack_b32_f16 v42, v42, v80
	v_fma_f16 v43, v43, 2.0, -v51
	v_fma_f16 v116, v116, 2.0, -v52
	;; [unrolled: 1-line block ×8, first 2 shown]
	s_barrier
	buffer_gl0_inv
	ds_write2_b32 v88, v45, v50 offset1:2
	ds_write2_b32 v89, v46, v42 offset1:2
	v_pack_b32_f16 v42, v47, v81
	v_pack_b32_f16 v45, v115, v54
	;; [unrolled: 1-line block ×10, first 2 shown]
	ds_write2_b32 v83, v42, v45 offset1:2
	ds_write2_b32 v84, v46, v47 offset1:2
	;; [unrolled: 1-line block ×5, first 2 shown]
	s_and_saveexec_b32 s1, vcc_lo
	s_cbranch_execz .LBB0_29
; %bb.28:
	v_and_or_b32 v41, 0x37c, v73, v74
	v_perm_b32 v42, v77, v75, 0x5040100
	v_perm_b32 v43, v78, v79, 0x5040100
	v_lshlrev_b32_e32 v41, 2, v41
	ds_write2_b32 v41, v42, v43 offset1:2
.LBB0_29:
	s_or_b32 exec_lo, exec_lo, s1
	v_add_nc_u32_e32 v41, 0x400, v57
	v_add_nc_u32_e32 v43, 0x600, v57
	;; [unrolled: 1-line block ×4, first 2 shown]
	s_waitcnt lgkmcnt(0)
	s_barrier
	buffer_gl0_inv
	ds_read2_b32 v[47:48], v57 offset1:56
	ds_read2_b32 v[41:42], v41 offset0:80 offset1:164
	ds_read2_b32 v[53:54], v43 offset0:92 offset1:148
	;; [unrolled: 1-line block ×6, first 2 shown]
	s_and_saveexec_b32 s1, vcc_lo
	s_cbranch_execz .LBB0_31
; %bb.30:
	ds_read_b32 v75, v57 offset:1568
	ds_read_b32 v79, v57 offset:3248
	s_waitcnt lgkmcnt(1)
	v_lshrrev_b32_e32 v77, 16, v75
	s_waitcnt lgkmcnt(0)
	v_lshrrev_b32_e32 v78, 16, v79
.LBB0_31:
	s_or_b32 exec_lo, exec_lo, s1
	s_waitcnt lgkmcnt(5)
	v_lshrrev_b32_e32 v80, 16, v42
	s_waitcnt lgkmcnt(4)
	v_lshrrev_b32_e32 v82, 16, v53
	v_lshrrev_b32_e32 v84, 16, v54
	s_waitcnt lgkmcnt(2)
	v_lshrrev_b32_e32 v88, 16, v52
	v_mul_f16_sdwa v116, v90, v53 dst_sel:DWORD dst_unused:UNUSED_PAD src0_sel:WORD_1 src1_sel:DWORD
	v_mul_f16_sdwa v112, v90, v80 dst_sel:DWORD dst_unused:UNUSED_PAD src0_sel:WORD_1 src1_sel:DWORD
	;; [unrolled: 1-line block ×3, first 2 shown]
	v_lshrrev_b32_e32 v86, 16, v51
	s_waitcnt lgkmcnt(0)
	v_lshrrev_b32_e32 v91, 16, v49
	v_mul_f16_sdwa v114, v90, v42 dst_sel:DWORD dst_unused:UNUSED_PAD src0_sel:WORD_1 src1_sel:DWORD
	v_fmac_f16_e32 v112, v90, v42
	v_mul_f16_sdwa v42, v90, v84 dst_sel:DWORD dst_unused:UNUSED_PAD src0_sel:WORD_1 src1_sel:DWORD
	v_fmac_f16_e32 v115, v90, v53
	v_fma_f16 v53, v90, v82, -v116
	v_mul_f16_sdwa v82, v90, v54 dst_sel:DWORD dst_unused:UNUSED_PAD src0_sel:WORD_1 src1_sel:DWORD
	v_mul_f16_sdwa v116, v90, v88 dst_sel:DWORD dst_unused:UNUSED_PAD src0_sel:WORD_1 src1_sel:DWORD
	v_fma_f16 v80, v90, v80, -v114
	v_fmac_f16_e32 v42, v90, v54
	v_mul_f16_sdwa v54, v90, v86 dst_sel:DWORD dst_unused:UNUSED_PAD src0_sel:WORD_1 src1_sel:DWORD
	v_mul_f16_sdwa v114, v90, v51 dst_sel:DWORD dst_unused:UNUSED_PAD src0_sel:WORD_1 src1_sel:DWORD
	v_fma_f16 v82, v90, v84, -v82
	v_mul_f16_sdwa v84, v90, v52 dst_sel:DWORD dst_unused:UNUSED_PAD src0_sel:WORD_1 src1_sel:DWORD
	v_fmac_f16_e32 v116, v90, v52
	v_mul_f16_sdwa v52, v90, v91 dst_sel:DWORD dst_unused:UNUSED_PAD src0_sel:WORD_1 src1_sel:DWORD
	v_lshrrev_b32_e32 v113, 16, v50
	v_lshrrev_b32_e32 v74, 16, v47
	v_fmac_f16_e32 v54, v90, v51
	v_fma_f16 v51, v90, v86, -v114
	v_mul_f16_sdwa v86, v90, v49 dst_sel:DWORD dst_unused:UNUSED_PAD src0_sel:WORD_1 src1_sel:DWORD
	v_fmac_f16_e32 v52, v90, v49
	v_mul_f16_sdwa v49, v90, v78 dst_sel:DWORD dst_unused:UNUSED_PAD src0_sel:WORD_1 src1_sel:DWORD
	v_lshrrev_b32_e32 v81, 16, v48
	v_fma_f16 v84, v90, v88, -v84
	v_mul_f16_sdwa v88, v90, v113 dst_sel:DWORD dst_unused:UNUSED_PAD src0_sel:WORD_1 src1_sel:DWORD
	v_mul_f16_sdwa v114, v90, v50 dst_sel:DWORD dst_unused:UNUSED_PAD src0_sel:WORD_1 src1_sel:DWORD
	v_lshrrev_b32_e32 v83, 16, v45
	v_fma_f16 v86, v90, v91, -v86
	v_mul_f16_sdwa v91, v90, v79 dst_sel:DWORD dst_unused:UNUSED_PAD src0_sel:WORD_1 src1_sel:DWORD
	v_fmac_f16_e32 v49, v90, v79
	v_sub_f16_e32 v79, v47, v112
	v_sub_f16_e32 v80, v74, v80
	v_lshrrev_b32_e32 v85, 16, v46
	v_sub_f16_e32 v112, v48, v115
	v_sub_f16_e32 v53, v81, v53
	v_lshrrev_b32_e32 v87, 16, v43
	v_lshrrev_b32_e32 v89, 16, v44
	;; [unrolled: 1-line block ×3, first 2 shown]
	v_fmac_f16_e32 v88, v90, v50
	v_fma_f16 v50, v90, v113, -v114
	v_fma_f16 v78, v90, v78, -v91
	v_fma_f16 v47, v47, 2.0, -v79
	v_fma_f16 v74, v74, 2.0, -v80
	v_sub_f16_e32 v90, v45, v42
	v_sub_f16_e32 v82, v83, v82
	v_fma_f16 v48, v48, 2.0, -v112
	v_fma_f16 v81, v81, 2.0, -v53
	v_sub_f16_e32 v54, v46, v54
	v_sub_f16_e32 v51, v85, v51
	;; [unrolled: 1-line block ×8, first 2 shown]
	v_fma_f16 v45, v45, 2.0, -v90
	v_fma_f16 v83, v83, 2.0, -v82
	v_sub_f16_e32 v42, v75, v49
	v_pack_b32_f16 v47, v47, v74
	v_pack_b32_f16 v49, v79, v80
	v_fma_f16 v46, v46, 2.0, -v54
	v_fma_f16 v85, v85, 2.0, -v51
	v_pack_b32_f16 v48, v48, v81
	v_pack_b32_f16 v53, v112, v53
	v_fma_f16 v113, v43, 2.0, -v91
	v_fma_f16 v87, v87, 2.0, -v84
	;; [unrolled: 1-line block ×6, first 2 shown]
	v_sub_f16_e32 v43, v77, v78
	s_barrier
	buffer_gl0_inv
	ds_write2_b32 v98, v47, v49 offset1:4
	ds_write2_b32 v99, v48, v53 offset1:4
	v_pack_b32_f16 v45, v45, v83
	v_pack_b32_f16 v47, v90, v82
	;; [unrolled: 1-line block ×10, first 2 shown]
	ds_write2_b32 v93, v45, v47 offset1:4
	ds_write2_b32 v94, v46, v48 offset1:4
	;; [unrolled: 1-line block ×5, first 2 shown]
	s_and_saveexec_b32 s1, vcc_lo
	s_cbranch_execz .LBB0_33
; %bb.32:
	v_fma_f16 v41, v75, 2.0, -v42
	v_and_or_b32 v44, 0x378, v73, v76
	v_fma_f16 v45, v77, 2.0, -v43
	v_lshlrev_b32_e32 v44, 2, v44
	v_pack_b32_f16 v41, v41, v45
	v_perm_b32 v45, v43, v42, 0x5040100
	ds_write2_b32 v44, v41, v45 offset1:4
.LBB0_33:
	s_or_b32 exec_lo, exec_lo, s1
	v_add_nc_u32_e32 v46, 0x200, v57
	v_add_nc_u32_e32 v44, 0x800, v57
	;; [unrolled: 1-line block ×3, first 2 shown]
	s_waitcnt lgkmcnt(0)
	s_barrier
	buffer_gl0_inv
	ds_read2_b32 v[47:48], v57 offset1:56
	ds_read2_b32 v[49:50], v57 offset0:112 offset1:168
	ds_read_b32 v41, v57 offset:3136
	ds_read2_b32 v[51:52], v46 offset0:96 offset1:152
	ds_read2_b32 v[53:54], v44 offset0:48 offset1:104
	;; [unrolled: 1-line block ×5, first 2 shown]
	s_waitcnt lgkmcnt(0)
	s_barrier
	buffer_gl0_inv
	v_lshrrev_b32_e32 v81, 16, v49
	v_lshrrev_b32_e32 v83, 16, v41
	;; [unrolled: 1-line block ×5, first 2 shown]
	v_mul_f16_sdwa v93, v29, v52 dst_sel:DWORD dst_unused:UNUSED_PAD src0_sel:WORD_1 src1_sel:DWORD
	v_lshrrev_b32_e32 v87, 16, v54
	v_mul_f16_sdwa v95, v29, v84 dst_sel:DWORD dst_unused:UNUSED_PAD src0_sel:WORD_1 src1_sel:DWORD
	v_mul_f16_sdwa v96, v30, v85 dst_sel:DWORD dst_unused:UNUSED_PAD src0_sel:WORD_1 src1_sel:DWORD
	v_mul_f16_sdwa v97, v30, v53 dst_sel:DWORD dst_unused:UNUSED_PAD src0_sel:WORD_1 src1_sel:DWORD
	v_fma_f16 v84, v29, v84, -v93
	v_mul_f16_sdwa v93, v29, v86 dst_sel:DWORD dst_unused:UNUSED_PAD src0_sel:WORD_1 src1_sel:DWORD
	v_lshrrev_b32_e32 v88, 16, v74
	v_fmac_f16_e32 v95, v29, v52
	v_mul_f16_sdwa v52, v29, v73 dst_sel:DWORD dst_unused:UNUSED_PAD src0_sel:WORD_1 src1_sel:DWORD
	v_lshrrev_b32_e32 v89, 16, v75
	v_fmac_f16_e32 v96, v30, v53
	v_fma_f16 v53, v30, v85, -v97
	v_mul_f16_sdwa v85, v30, v87 dst_sel:DWORD dst_unused:UNUSED_PAD src0_sel:WORD_1 src1_sel:DWORD
	v_fmac_f16_e32 v93, v29, v73
	v_mul_f16_sdwa v73, v30, v54 dst_sel:DWORD dst_unused:UNUSED_PAD src0_sel:WORD_1 src1_sel:DWORD
	v_fma_f16 v52, v29, v86, -v52
	v_mul_f16_sdwa v86, v29, v88 dst_sel:DWORD dst_unused:UNUSED_PAD src0_sel:WORD_1 src1_sel:DWORD
	v_lshrrev_b32_e32 v90, 16, v77
	v_fmac_f16_e32 v85, v30, v54
	v_mul_f16_sdwa v54, v29, v74 dst_sel:DWORD dst_unused:UNUSED_PAD src0_sel:WORD_1 src1_sel:DWORD
	v_fma_f16 v73, v30, v87, -v73
	v_mul_f16_sdwa v87, v30, v89 dst_sel:DWORD dst_unused:UNUSED_PAD src0_sel:WORD_1 src1_sel:DWORD
	v_lshrrev_b32_e32 v91, 16, v76
	v_fmac_f16_e32 v86, v29, v74
	v_mul_f16_sdwa v74, v30, v75 dst_sel:DWORD dst_unused:UNUSED_PAD src0_sel:WORD_1 src1_sel:DWORD
	v_lshrrev_b32_e32 v94, 16, v78
	v_fma_f16 v54, v29, v88, -v54
	v_mul_f16_sdwa v88, v29, v90 dst_sel:DWORD dst_unused:UNUSED_PAD src0_sel:WORD_1 src1_sel:DWORD
	v_fmac_f16_e32 v87, v30, v75
	v_mul_f16_sdwa v75, v29, v77 dst_sel:DWORD dst_unused:UNUSED_PAD src0_sel:WORD_1 src1_sel:DWORD
	v_fma_f16 v74, v30, v89, -v74
	v_mul_f16_sdwa v89, v30, v91 dst_sel:DWORD dst_unused:UNUSED_PAD src0_sel:WORD_1 src1_sel:DWORD
	v_fmac_f16_e32 v88, v29, v77
	v_mul_f16_sdwa v77, v30, v76 dst_sel:DWORD dst_unused:UNUSED_PAD src0_sel:WORD_1 src1_sel:DWORD
	;; [unrolled: 4-line block ×4, first 2 shown]
	v_fma_f16 v29, v29, v94, -v76
	v_add_f16_e32 v76, v95, v96
	v_lshrrev_b32_e32 v79, 16, v47
	v_fmac_f16_e32 v91, v30, v41
	v_fma_f16 v30, v30, v83, -v78
	v_add_f16_e32 v78, v84, v53
	v_add_f16_e32 v41, v47, v95
	v_fma_f16 v47, -0.5, v76, v47
	v_sub_f16_e32 v76, v84, v53
	v_add_f16_e32 v83, v79, v84
	v_fmac_f16_e32 v79, -0.5, v78
	v_sub_f16_e32 v78, v95, v96
	v_lshrrev_b32_e32 v80, 16, v48
	v_fmamk_f16 v84, v76, 0xbaee, v47
	v_fmac_f16_e32 v47, 0x3aee, v76
	v_add_f16_e32 v76, v93, v85
	v_add_f16_e32 v53, v83, v53
	v_fmamk_f16 v83, v78, 0x3aee, v79
	v_fmac_f16_e32 v79, 0xbaee, v78
	v_add_f16_e32 v78, v52, v73
	v_add_f16_e32 v94, v48, v93
	v_fmac_f16_e32 v48, -0.5, v76
	v_sub_f16_e32 v76, v52, v73
	v_add_f16_e32 v52, v80, v52
	v_fmac_f16_e32 v80, -0.5, v78
	v_sub_f16_e32 v78, v93, v85
	v_add_f16_e32 v94, v94, v85
	v_fmamk_f16 v85, v76, 0xbaee, v48
	v_add_f16_e32 v52, v52, v73
	v_add_f16_e32 v73, v86, v87
	v_fmac_f16_e32 v48, 0x3aee, v76
	v_fmamk_f16 v76, v78, 0x3aee, v80
	v_fmac_f16_e32 v80, 0xbaee, v78
	v_add_f16_e32 v78, v54, v74
	v_add_f16_e32 v93, v49, v86
	v_fma_f16 v49, -0.5, v73, v49
	v_sub_f16_e32 v73, v54, v74
	v_add_f16_e32 v54, v81, v54
	v_fmac_f16_e32 v81, -0.5, v78
	v_sub_f16_e32 v78, v86, v87
	v_lshrrev_b32_e32 v82, 16, v50
	v_fmamk_f16 v86, v73, 0xbaee, v49
	v_fmac_f16_e32 v49, 0x3aee, v73
	v_add_f16_e32 v73, v88, v89
	v_add_f16_e32 v54, v54, v74
	v_fmamk_f16 v74, v78, 0x3aee, v81
	v_fmac_f16_e32 v81, 0xbaee, v78
	v_add_f16_e32 v78, v75, v77
	v_add_f16_e32 v93, v93, v87
	;; [unrolled: 1-line block ×3, first 2 shown]
	v_fmac_f16_e32 v50, -0.5, v73
	v_sub_f16_e32 v73, v75, v77
	v_add_f16_e32 v75, v82, v75
	v_fmac_f16_e32 v82, -0.5, v78
	v_sub_f16_e32 v78, v88, v89
	v_lshrrev_b32_e32 v92, 16, v51
	v_fmamk_f16 v88, v73, 0xbaee, v50
	v_fmac_f16_e32 v50, 0x3aee, v73
	v_add_f16_e32 v73, v75, v77
	v_add_f16_e32 v75, v90, v91
	v_fmamk_f16 v77, v78, 0x3aee, v82
	v_fmac_f16_e32 v82, 0xbaee, v78
	v_add_f16_e32 v78, v29, v30
	v_add_f16_e32 v41, v41, v96
	;; [unrolled: 1-line block ×4, first 2 shown]
	v_fmac_f16_e32 v51, -0.5, v75
	v_sub_f16_e32 v75, v29, v30
	v_add_f16_e32 v29, v92, v29
	v_fmac_f16_e32 v92, -0.5, v78
	v_sub_f16_e32 v78, v90, v91
	v_pack_b32_f16 v41, v41, v53
	v_pack_b32_f16 v53, v84, v83
	v_pack_b32_f16 v47, v47, v79
	v_fmamk_f16 v90, v75, 0xbaee, v51
	v_fmac_f16_e32 v51, 0x3aee, v75
	v_pack_b32_f16 v52, v94, v52
	v_pack_b32_f16 v75, v85, v76
	v_add_f16_e32 v89, v89, v91
	v_add_f16_e32 v29, v29, v30
	v_fmamk_f16 v30, v78, 0x3aee, v92
	v_pack_b32_f16 v48, v48, v80
	v_fmac_f16_e32 v92, 0xbaee, v78
	v_pack_b32_f16 v54, v93, v54
	v_pack_b32_f16 v74, v86, v74
	ds_write2_b32 v107, v41, v53 offset1:8
	ds_write_b32 v107, v47 offset:64
	ds_write2_b32 v106, v52, v75 offset1:8
	ds_write_b32 v106, v48 offset:64
	ds_write2_b32 v104, v54, v74 offset1:8
	v_pack_b32_f16 v41, v49, v81
	v_pack_b32_f16 v47, v87, v73
	v_pack_b32_f16 v48, v88, v77
	v_pack_b32_f16 v49, v50, v82
	v_pack_b32_f16 v29, v89, v29
	v_pack_b32_f16 v30, v90, v30
	v_pack_b32_f16 v50, v51, v92
	ds_write_b32 v104, v41 offset:64
	ds_write2_b32 v103, v47, v48 offset1:8
	ds_write_b32 v103, v49 offset:64
	ds_write2_b32 v102, v29, v30 offset1:8
	ds_write_b32 v102, v50 offset:64
	s_waitcnt lgkmcnt(0)
	s_barrier
	buffer_gl0_inv
	ds_read2_b32 v[29:30], v57 offset1:56
	ds_read2_b32 v[48:49], v57 offset0:112 offset1:168
	ds_read2_b32 v[50:51], v45 offset0:80 offset1:136
	;; [unrolled: 1-line block ×6, first 2 shown]
	ds_read_b32 v41, v57 offset:3136
	s_waitcnt lgkmcnt(0)
	s_barrier
	buffer_gl0_inv
	v_lshrrev_b32_e32 v54, 16, v29
	v_lshrrev_b32_e32 v47, 16, v49
	;; [unrolled: 1-line block ×5, first 2 shown]
	v_mul_f16_sdwa v93, v12, v49 dst_sel:DWORD dst_unused:UNUSED_PAD src0_sel:WORD_1 src1_sel:DWORD
	v_mul_f16_sdwa v92, v12, v47 dst_sel:DWORD dst_unused:UNUSED_PAD src0_sel:WORD_1 src1_sel:DWORD
	;; [unrolled: 1-line block ×3, first 2 shown]
	v_lshrrev_b32_e32 v83, 16, v75
	v_lshrrev_b32_e32 v84, 16, v51
	v_mul_f16_sdwa v95, v13, v50 dst_sel:DWORD dst_unused:UNUSED_PAD src0_sel:WORD_1 src1_sel:DWORD
	v_mul_f16_sdwa v96, v14, v80 dst_sel:DWORD dst_unused:UNUSED_PAD src0_sel:WORD_1 src1_sel:DWORD
	v_fmac_f16_e32 v92, v12, v49
	v_fma_f16 v12, v12, v47, -v93
	v_fmac_f16_e32 v94, v13, v50
	v_mul_f16_sdwa v47, v14, v53 dst_sel:DWORD dst_unused:UNUSED_PAD src0_sel:WORD_1 src1_sel:DWORD
	v_mul_f16_sdwa v49, v15, v81 dst_sel:DWORD dst_unused:UNUSED_PAD src0_sel:WORD_1 src1_sel:DWORD
	;; [unrolled: 1-line block ×3, first 2 shown]
	v_lshrrev_b32_e32 v85, 16, v77
	v_lshrrev_b32_e32 v86, 16, v74
	v_fma_f16 v13, v13, v79, -v95
	v_fmac_f16_e32 v96, v14, v53
	v_mul_f16_sdwa v53, v8, v83 dst_sel:DWORD dst_unused:UNUSED_PAD src0_sel:WORD_1 src1_sel:DWORD
	v_mul_f16_sdwa v79, v8, v75 dst_sel:DWORD dst_unused:UNUSED_PAD src0_sel:WORD_1 src1_sel:DWORD
	v_fma_f16 v14, v14, v80, -v47
	v_fmac_f16_e32 v49, v15, v73
	v_fma_f16 v15, v15, v81, -v50
	v_mul_f16_sdwa v47, v9, v84 dst_sel:DWORD dst_unused:UNUSED_PAD src0_sel:WORD_1 src1_sel:DWORD
	v_mul_f16_sdwa v50, v9, v51 dst_sel:DWORD dst_unused:UNUSED_PAD src0_sel:WORD_1 src1_sel:DWORD
	v_lshrrev_b32_e32 v88, 16, v76
	v_lshrrev_b32_e32 v89, 16, v52
	v_fmac_f16_e32 v53, v8, v75
	v_fma_f16 v8, v8, v83, -v79
	v_mul_f16_sdwa v73, v10, v85 dst_sel:DWORD dst_unused:UNUSED_PAD src0_sel:WORD_1 src1_sel:DWORD
	v_mul_f16_sdwa v75, v10, v77 dst_sel:DWORD dst_unused:UNUSED_PAD src0_sel:WORD_1 src1_sel:DWORD
	;; [unrolled: 1-line block ×3, first 2 shown]
	v_fmac_f16_e32 v47, v9, v51
	v_fma_f16 v9, v9, v84, -v50
	v_mul_f16_sdwa v50, v11, v74 dst_sel:DWORD dst_unused:UNUSED_PAD src0_sel:WORD_1 src1_sel:DWORD
	v_lshrrev_b32_e32 v90, 16, v78
	v_lshrrev_b32_e32 v91, 16, v41
	v_fmac_f16_e32 v73, v10, v77
	v_fma_f16 v10, v10, v85, -v75
	v_fmac_f16_e32 v79, v11, v74
	v_mul_f16_sdwa v51, v4, v88 dst_sel:DWORD dst_unused:UNUSED_PAD src0_sel:WORD_1 src1_sel:DWORD
	v_mul_f16_sdwa v74, v4, v76 dst_sel:DWORD dst_unused:UNUSED_PAD src0_sel:WORD_1 src1_sel:DWORD
	v_mul_f16_sdwa v75, v5, v89 dst_sel:DWORD dst_unused:UNUSED_PAD src0_sel:WORD_1 src1_sel:DWORD
	v_mul_f16_sdwa v77, v5, v52 dst_sel:DWORD dst_unused:UNUSED_PAD src0_sel:WORD_1 src1_sel:DWORD
	v_fma_f16 v11, v11, v86, -v50
	v_add_f16_e32 v50, v94, v96
	v_fmac_f16_e32 v51, v4, v76
	v_fma_f16 v4, v4, v88, -v74
	v_fmac_f16_e32 v75, v5, v52
	v_fma_f16 v5, v5, v89, -v77
	v_mul_f16_sdwa v52, v6, v90 dst_sel:DWORD dst_unused:UNUSED_PAD src0_sel:WORD_1 src1_sel:DWORD
	v_mul_f16_sdwa v74, v6, v78 dst_sel:DWORD dst_unused:UNUSED_PAD src0_sel:WORD_1 src1_sel:DWORD
	;; [unrolled: 1-line block ×3, first 2 shown]
	v_add_f16_e32 v77, v29, v92
	v_fma_f16 v50, -0.5, v50, v29
	v_sub_f16_e32 v80, v12, v15
	v_fmac_f16_e32 v52, v6, v78
	v_fma_f16 v6, v6, v90, -v74
	v_fmac_f16_e32 v76, v7, v41
	v_add_f16_e32 v74, v77, v94
	v_fmamk_f16 v77, v80, 0xbb9c, v50
	v_sub_f16_e32 v78, v13, v14
	v_sub_f16_e32 v81, v92, v94
	;; [unrolled: 1-line block ×3, first 2 shown]
	v_add_f16_e32 v84, v92, v49
	v_mul_f16_sdwa v41, v7, v41 dst_sel:DWORD dst_unused:UNUSED_PAD src0_sel:WORD_1 src1_sel:DWORD
	v_fmac_f16_e32 v50, 0x3b9c, v80
	v_add_f16_e32 v74, v74, v96
	v_fmac_f16_e32 v77, 0xb8b4, v78
	v_add_f16_e32 v81, v81, v83
	v_fma_f16 v29, -0.5, v84, v29
	v_fma_f16 v7, v7, v91, -v41
	v_sub_f16_e32 v41, v94, v92
	v_sub_f16_e32 v84, v96, v49
	v_fmac_f16_e32 v50, 0x38b4, v78
	v_add_f16_e32 v85, v54, v12
	v_add_f16_e32 v86, v13, v14
	;; [unrolled: 1-line block ×3, first 2 shown]
	v_fmac_f16_e32 v77, 0x34f2, v81
	v_fmamk_f16 v83, v78, 0x3b9c, v29
	v_add_f16_e32 v41, v41, v84
	v_fmac_f16_e32 v29, 0xbb9c, v78
	v_add_f16_e32 v78, v85, v13
	v_fma_f16 v84, -0.5, v86, v54
	v_sub_f16_e32 v49, v92, v49
	v_fmac_f16_e32 v50, 0x34f2, v81
	v_add_f16_e32 v81, v12, v15
	v_sub_f16_e32 v86, v12, v13
	v_sub_f16_e32 v12, v13, v12
	;; [unrolled: 1-line block ×3, first 2 shown]
	v_fmac_f16_e32 v83, 0xb8b4, v80
	v_fmac_f16_e32 v29, 0x38b4, v80
	v_add_f16_e32 v78, v78, v14
	v_fmamk_f16 v80, v49, 0x3b9c, v84
	v_sub_f16_e32 v85, v94, v96
	v_sub_f16_e32 v88, v15, v14
	v_fmac_f16_e32 v54, -0.5, v81
	v_fmac_f16_e32 v84, 0xbb9c, v49
	v_add_f16_e32 v14, v47, v73
	v_add_f16_e32 v12, v12, v13
	;; [unrolled: 1-line block ×3, first 2 shown]
	v_lshrrev_b32_e32 v82, 16, v30
	v_fmac_f16_e32 v83, 0x34f2, v41
	v_fmac_f16_e32 v29, 0x34f2, v41
	v_add_f16_e32 v78, v78, v15
	v_fmac_f16_e32 v80, 0x38b4, v85
	v_add_f16_e32 v41, v86, v88
	v_fmamk_f16 v81, v85, 0xbb9c, v54
	v_fmac_f16_e32 v84, 0xb8b4, v85
	v_fma_f16 v14, -0.5, v14, v30
	v_sub_f16_e32 v15, v8, v11
	v_fmac_f16_e32 v54, 0x3b9c, v85
	v_add_f16_e32 v13, v13, v47
	v_add_f16_e32 v89, v53, v79
	v_fmac_f16_e32 v80, 0x34f2, v41
	v_fmac_f16_e32 v81, 0x38b4, v49
	;; [unrolled: 1-line block ×3, first 2 shown]
	v_fmamk_f16 v85, v15, 0xbb9c, v14
	v_sub_f16_e32 v41, v9, v10
	v_sub_f16_e32 v86, v53, v47
	;; [unrolled: 1-line block ×3, first 2 shown]
	v_fmac_f16_e32 v54, 0xb8b4, v49
	v_add_f16_e32 v13, v13, v73
	v_fmac_f16_e32 v30, -0.5, v89
	v_fmac_f16_e32 v14, 0x3b9c, v15
	v_add_f16_e32 v89, v82, v8
	v_fmac_f16_e32 v81, 0x34f2, v12
	v_fmac_f16_e32 v85, 0xb8b4, v41
	v_add_f16_e32 v49, v86, v88
	v_fmac_f16_e32 v54, 0x34f2, v12
	v_add_f16_e32 v12, v13, v79
	v_fmamk_f16 v13, v41, 0x3b9c, v30
	v_sub_f16_e32 v86, v47, v53
	v_sub_f16_e32 v88, v73, v79
	v_fmac_f16_e32 v14, 0x38b4, v41
	v_add_f16_e32 v90, v9, v10
	v_fmac_f16_e32 v30, 0xbb9c, v41
	v_add_f16_e32 v41, v89, v9
	;; [unrolled: 2-line block ×3, first 2 shown]
	v_fma_f16 v88, -0.5, v90, v82
	v_sub_f16_e32 v53, v53, v79
	v_fmac_f16_e32 v30, 0x38b4, v15
	v_add_f16_e32 v15, v41, v10
	v_add_f16_e32 v41, v8, v11
	v_fmac_f16_e32 v85, 0x34f2, v49
	v_fmac_f16_e32 v14, 0x34f2, v49
	v_fmamk_f16 v49, v53, 0x3b9c, v88
	v_sub_f16_e32 v47, v47, v73
	v_sub_f16_e32 v73, v8, v9
	;; [unrolled: 1-line block ×3, first 2 shown]
	v_fmac_f16_e32 v82, -0.5, v41
	v_fmac_f16_e32 v88, 0xbb9c, v53
	v_sub_f16_e32 v8, v9, v8
	v_sub_f16_e32 v9, v10, v11
	v_add_f16_e32 v10, v75, v52
	v_fmac_f16_e32 v49, 0x38b4, v47
	v_add_f16_e32 v73, v73, v79
	v_fmamk_f16 v79, v47, 0xbb9c, v82
	v_fmac_f16_e32 v88, 0xb8b4, v47
	v_add_f16_e32 v8, v8, v9
	v_fmac_f16_e32 v82, 0x3b9c, v47
	v_add_f16_e32 v9, v48, v51
	v_fma_f16 v41, -0.5, v10, v48
	v_sub_f16_e32 v10, v4, v7
	v_fmac_f16_e32 v13, 0x34f2, v86
	v_fmac_f16_e32 v30, 0x34f2, v86
	v_add_f16_e32 v15, v15, v11
	v_fmac_f16_e32 v49, 0x34f2, v73
	v_fmac_f16_e32 v79, 0x38b4, v53
	;; [unrolled: 1-line block ×4, first 2 shown]
	v_add_f16_e32 v9, v9, v75
	v_fmamk_f16 v11, v10, 0xbb9c, v41
	v_sub_f16_e32 v47, v5, v6
	v_sub_f16_e32 v53, v51, v75
	;; [unrolled: 1-line block ×3, first 2 shown]
	v_fmac_f16_e32 v41, 0x3b9c, v10
	v_add_f16_e32 v86, v51, v76
	v_lshrrev_b32_e32 v87, 16, v48
	v_add_f16_e32 v9, v9, v52
	v_fmac_f16_e32 v11, 0xb8b4, v47
	v_add_f16_e32 v53, v53, v73
	v_fmac_f16_e32 v41, 0x38b4, v47
	v_fmac_f16_e32 v48, -0.5, v86
	v_fmac_f16_e32 v79, 0x34f2, v8
	v_fmac_f16_e32 v82, 0x34f2, v8
	v_add_f16_e32 v8, v9, v76
	v_fmac_f16_e32 v11, 0x34f2, v53
	v_fmac_f16_e32 v41, 0x34f2, v53
	v_fmamk_f16 v9, v47, 0x3b9c, v48
	v_add_f16_e32 v53, v5, v6
	v_sub_f16_e32 v73, v75, v51
	v_sub_f16_e32 v86, v52, v76
	v_fmac_f16_e32 v48, 0xbb9c, v47
	v_sub_f16_e32 v51, v51, v76
	v_add_f16_e32 v76, v4, v7
	v_add_f16_e32 v89, v87, v4
	v_fma_f16 v47, -0.5, v53, v87
	v_fmac_f16_e32 v9, 0xb8b4, v10
	v_add_f16_e32 v53, v73, v86
	v_fmac_f16_e32 v48, 0x38b4, v10
	v_sub_f16_e32 v52, v75, v52
	v_fmac_f16_e32 v87, -0.5, v76
	v_add_f16_e32 v10, v89, v5
	v_fmamk_f16 v73, v51, 0x3b9c, v47
	v_fmac_f16_e32 v9, 0x34f2, v53
	v_fmac_f16_e32 v48, 0x34f2, v53
	v_sub_f16_e32 v53, v4, v5
	v_sub_f16_e32 v75, v7, v6
	v_fmac_f16_e32 v47, 0xbb9c, v51
	v_fmamk_f16 v76, v52, 0xbb9c, v87
	v_sub_f16_e32 v4, v5, v4
	v_sub_f16_e32 v5, v6, v7
	v_fmac_f16_e32 v87, 0x3b9c, v52
	v_add_f16_e32 v10, v10, v6
	v_fmac_f16_e32 v73, 0x38b4, v52
	v_add_f16_e32 v6, v53, v75
	v_fmac_f16_e32 v47, 0xb8b4, v52
	v_fmac_f16_e32 v76, 0x38b4, v51
	v_add_f16_e32 v4, v4, v5
	v_fmac_f16_e32 v87, 0xb8b4, v51
	v_fmac_f16_e32 v73, 0x34f2, v6
	;; [unrolled: 1-line block ×3, first 2 shown]
	v_pack_b32_f16 v6, v77, v80
	v_fmac_f16_e32 v76, 0x34f2, v4
	v_fmac_f16_e32 v87, 0x34f2, v4
	v_pack_b32_f16 v4, v74, v78
	v_add_f16_e32 v5, v10, v7
	v_pack_b32_f16 v7, v83, v81
	v_pack_b32_f16 v10, v29, v54
	;; [unrolled: 1-line block ×5, first 2 shown]
	ds_write2_b32 v105, v4, v6 offset1:24
	ds_write2_b32 v105, v7, v10 offset0:48 offset1:72
	ds_write_b32 v105, v29 offset:384
	ds_write2_b32 v101, v12, v15 offset1:24
	v_pack_b32_f16 v4, v13, v79
	v_pack_b32_f16 v6, v30, v82
	;; [unrolled: 1-line block ×8, first 2 shown]
	ds_write2_b32 v101, v4, v6 offset0:48 offset1:72
	ds_write_b32 v101, v7 offset:384
	ds_write2_b32 v100, v5, v8 offset1:24
	ds_write2_b32 v100, v9, v10 offset0:48 offset1:72
	ds_write_b32 v100, v11 offset:384
	v_add_nc_u32_e32 v6, 0x600, v57
	v_add_nc_u32_e32 v7, 0xa00, v57
	s_waitcnt lgkmcnt(0)
	s_barrier
	buffer_gl0_inv
	ds_read2_b32 v[4:5], v57 offset1:56
	ds_read2_b32 v[29:30], v57 offset0:120 offset1:176
	ds_read2_b32 v[14:15], v46 offset0:112 offset1:168
	;; [unrolled: 1-line block ×6, first 2 shown]
	s_and_saveexec_b32 s1, s0
	s_cbranch_execz .LBB0_35
; %bb.34:
	ds_read2_b32 v[41:42], v57 offset0:112 offset1:232
	ds_read2_b32 v[37:38], v45 offset0:96 offset1:216
	;; [unrolled: 1-line block ×3, first 2 shown]
	ds_read_b32 v110, v57 offset:3328
	s_waitcnt lgkmcnt(3)
	v_lshrrev_b32_e32 v47, 16, v41
	v_lshrrev_b32_e32 v43, 16, v42
	s_waitcnt lgkmcnt(2)
	v_lshrrev_b32_e32 v55, 16, v37
	v_lshrrev_b32_e32 v56, 16, v38
	;; [unrolled: 3-line block ×3, first 2 shown]
	s_waitcnt lgkmcnt(0)
	v_lshrrev_b32_e32 v111, 16, v110
.LBB0_35:
	s_or_b32 exec_lo, exec_lo, s1
	s_waitcnt lgkmcnt(5)
	v_lshrrev_b32_e32 v44, 16, v29
	s_waitcnt lgkmcnt(4)
	v_lshrrev_b32_e32 v45, 16, v14
	;; [unrolled: 2-line block ×5, first 2 shown]
	v_mul_f16_sdwa v74, v20, v44 dst_sel:DWORD dst_unused:UNUSED_PAD src0_sel:WORD_1 src1_sel:DWORD
	v_mul_f16_sdwa v75, v20, v29 dst_sel:DWORD dst_unused:UNUSED_PAD src0_sel:WORD_1 src1_sel:DWORD
	;; [unrolled: 1-line block ×4, first 2 shown]
	s_waitcnt lgkmcnt(0)
	v_lshrrev_b32_e32 v50, 16, v6
	v_lshrrev_b32_e32 v51, 16, v30
	v_fmac_f16_e32 v74, v20, v29
	v_fma_f16 v20, v20, v44, -v75
	v_fmac_f16_e32 v76, v21, v14
	v_fma_f16 v14, v21, v45, -v77
	v_mul_f16_sdwa v21, v22, v46 dst_sel:DWORD dst_unused:UNUSED_PAD src0_sel:WORD_1 src1_sel:DWORD
	v_mul_f16_sdwa v29, v22, v12 dst_sel:DWORD dst_unused:UNUSED_PAD src0_sel:WORD_1 src1_sel:DWORD
	;; [unrolled: 1-line block ×5, first 2 shown]
	v_lshrrev_b32_e32 v52, 16, v15
	v_lshrrev_b32_e32 v53, 16, v13
	;; [unrolled: 1-line block ×3, first 2 shown]
	v_fmac_f16_e32 v21, v22, v12
	v_fma_f16 v12, v22, v46, -v29
	v_fmac_f16_e32 v44, v23, v10
	v_fma_f16 v10, v23, v48, -v45
	v_fmac_f16_e32 v75, v35, v8
	v_mul_f16_sdwa v8, v35, v8 dst_sel:DWORD dst_unused:UNUSED_PAD src0_sel:WORD_1 src1_sel:DWORD
	v_mul_f16_sdwa v22, v36, v50 dst_sel:DWORD dst_unused:UNUSED_PAD src0_sel:WORD_1 src1_sel:DWORD
	;; [unrolled: 1-line block ×5, first 2 shown]
	v_lshrrev_b32_e32 v73, 16, v9
	v_fma_f16 v8, v35, v49, -v8
	v_fmac_f16_e32 v22, v36, v6
	v_fma_f16 v6, v36, v50, -v23
	v_fmac_f16_e32 v29, v16, v30
	v_fma_f16 v16, v16, v51, -v45
	v_mul_f16_sdwa v23, v17, v52 dst_sel:DWORD dst_unused:UNUSED_PAD src0_sel:WORD_1 src1_sel:DWORD
	v_mul_f16_sdwa v30, v17, v15 dst_sel:DWORD dst_unused:UNUSED_PAD src0_sel:WORD_1 src1_sel:DWORD
	;; [unrolled: 1-line block ×5, first 2 shown]
	v_lshrrev_b32_e32 v78, 16, v7
	v_fmac_f16_e32 v23, v17, v15
	v_fma_f16 v15, v17, v52, -v30
	v_fmac_f16_e32 v35, v18, v13
	v_fma_f16 v13, v18, v53, -v36
	v_fmac_f16_e32 v45, v19, v11
	v_mul_f16_sdwa v11, v19, v11 dst_sel:DWORD dst_unused:UNUSED_PAD src0_sel:WORD_1 src1_sel:DWORD
	v_mul_f16_sdwa v17, v33, v73 dst_sel:DWORD dst_unused:UNUSED_PAD src0_sel:WORD_1 src1_sel:DWORD
	;; [unrolled: 1-line block ×5, first 2 shown]
	v_fma_f16 v11, v19, v54, -v11
	v_fmac_f16_e32 v17, v33, v9
	v_fma_f16 v9, v33, v73, -v18
	v_add_f16_e32 v18, v74, v22
	v_add_f16_e32 v19, v20, v6
	v_sub_f16_e32 v6, v20, v6
	v_add_f16_e32 v20, v76, v75
	v_add_f16_e32 v33, v14, v8
	v_fmac_f16_e32 v30, v34, v7
	v_fma_f16 v7, v34, v78, -v36
	v_sub_f16_e32 v22, v74, v22
	v_sub_f16_e32 v34, v76, v75
	;; [unrolled: 1-line block ×3, first 2 shown]
	v_add_f16_e32 v14, v21, v44
	v_add_f16_e32 v36, v12, v10
	v_sub_f16_e32 v21, v44, v21
	v_sub_f16_e32 v10, v10, v12
	v_add_f16_e32 v12, v20, v18
	v_add_f16_e32 v44, v33, v19
	v_sub_f16_e32 v46, v20, v18
	v_sub_f16_e32 v48, v33, v19
	;; [unrolled: 1-line block ×6, first 2 shown]
	v_add_f16_e32 v49, v21, v34
	v_add_f16_e32 v50, v10, v8
	v_sub_f16_e32 v51, v21, v34
	v_sub_f16_e32 v52, v10, v8
	;; [unrolled: 1-line block ×3, first 2 shown]
	v_add_f16_e32 v12, v14, v12
	v_add_f16_e32 v14, v36, v44
	v_sub_f16_e32 v8, v8, v6
	v_sub_f16_e32 v21, v22, v21
	;; [unrolled: 1-line block ×3, first 2 shown]
	v_add_f16_e32 v22, v49, v22
	v_add_f16_e32 v6, v50, v6
	v_add_f16_e32 v36, v4, v12
	v_add_f16_sdwa v4, v4, v14 dst_sel:DWORD dst_unused:UNUSED_PAD src0_sel:WORD_1 src1_sel:DWORD
	v_mul_f16_e32 v18, 0x3a52, v18
	v_mul_f16_e32 v19, 0x3a52, v19
	;; [unrolled: 1-line block ×8, first 2 shown]
	v_fmamk_f16 v12, v12, 0xbcab, v36
	v_fmamk_f16 v14, v14, 0xbcab, v4
	;; [unrolled: 1-line block ×4, first 2 shown]
	v_fma_f16 v44, v46, 0x39e0, -v44
	v_fma_f16 v49, v48, 0x39e0, -v49
	v_fma_f16 v18, v46, 0xb9e0, -v18
	v_fma_f16 v19, v48, 0xb9e0, -v19
	v_fmamk_f16 v46, v21, 0xb574, v50
	v_fmamk_f16 v48, v10, 0xb574, v51
	v_fma_f16 v21, v21, 0x3574, -v52
	v_fma_f16 v10, v10, 0x3574, -v53
	;; [unrolled: 1-line block ×4, first 2 shown]
	v_add_f16_e32 v20, v20, v12
	v_add_f16_e32 v33, v33, v14
	;; [unrolled: 1-line block ×6, first 2 shown]
	v_fmac_f16_e32 v46, 0xb70e, v22
	v_fmac_f16_e32 v48, 0xb70e, v6
	;; [unrolled: 1-line block ×6, first 2 shown]
	v_add_f16_e32 v6, v48, v20
	v_sub_f16_e32 v18, v33, v46
	v_add_f16_e32 v19, v10, v12
	v_sub_f16_e32 v22, v14, v21
	v_sub_f16_e32 v10, v12, v10
	v_add_f16_e32 v12, v21, v14
	v_sub_f16_e32 v14, v20, v48
	v_add_f16_e32 v20, v46, v33
	v_add_f16_e32 v21, v29, v30
	;; [unrolled: 1-line block ×3, first 2 shown]
	v_sub_f16_e32 v29, v29, v30
	v_sub_f16_e32 v7, v16, v7
	v_add_f16_e32 v16, v23, v17
	v_add_f16_e32 v30, v15, v9
	v_sub_f16_e32 v50, v44, v8
	v_add_f16_e32 v8, v8, v44
	v_sub_f16_e32 v17, v23, v17
	v_sub_f16_e32 v9, v15, v9
	v_add_f16_e32 v15, v35, v45
	v_add_f16_e32 v23, v13, v11
	v_sub_f16_e32 v35, v45, v35
	v_sub_f16_e32 v11, v11, v13
	v_add_f16_e32 v13, v16, v21
	v_add_f16_e32 v44, v30, v33
	;; [unrolled: 1-line block ×3, first 2 shown]
	v_sub_f16_e32 v34, v49, v34
	v_sub_f16_e32 v45, v16, v21
	;; [unrolled: 1-line block ×7, first 2 shown]
	v_add_f16_e32 v48, v35, v17
	v_add_f16_e32 v49, v11, v9
	v_sub_f16_e32 v52, v35, v17
	v_sub_f16_e32 v53, v11, v9
	;; [unrolled: 1-line block ×3, first 2 shown]
	v_add_f16_e32 v13, v15, v13
	v_add_f16_e32 v15, v23, v44
	v_sub_f16_e32 v9, v9, v7
	v_sub_f16_e32 v35, v29, v35
	;; [unrolled: 1-line block ×3, first 2 shown]
	v_add_f16_e32 v23, v48, v29
	v_add_f16_e32 v7, v49, v7
	;; [unrolled: 1-line block ×3, first 2 shown]
	v_add_f16_sdwa v5, v5, v15 dst_sel:DWORD dst_unused:UNUSED_PAD src0_sel:WORD_1 src1_sel:DWORD
	v_mul_f16_e32 v21, 0x3a52, v21
	v_mul_f16_e32 v33, 0x3a52, v33
	;; [unrolled: 1-line block ×8, first 2 shown]
	v_fmamk_f16 v13, v13, 0xbcab, v29
	v_fmamk_f16 v15, v15, 0xbcab, v5
	v_fmamk_f16 v16, v16, 0x2b26, v21
	v_fmamk_f16 v30, v30, 0x2b26, v33
	v_fma_f16 v44, v45, 0x39e0, -v44
	v_fma_f16 v48, v46, 0x39e0, -v48
	;; [unrolled: 1-line block ×4, first 2 shown]
	v_fmamk_f16 v45, v35, 0xb574, v49
	v_fmamk_f16 v46, v11, 0xb574, v52
	v_fma_f16 v35, v35, 0x3574, -v53
	v_fma_f16 v11, v11, 0x3574, -v54
	;; [unrolled: 1-line block ×4, first 2 shown]
	v_add_f16_e32 v16, v16, v13
	v_add_f16_e32 v30, v30, v15
	;; [unrolled: 1-line block ×6, first 2 shown]
	v_fmac_f16_e32 v46, 0xb70e, v7
	v_fmac_f16_e32 v11, 0xb70e, v7
	;; [unrolled: 1-line block ×4, first 2 shown]
	v_pack_b32_f16 v6, v6, v18
	v_fmac_f16_e32 v17, 0xb70e, v23
	v_fmac_f16_e32 v9, 0xb70e, v7
	v_add_f16_e32 v7, v46, v16
	v_add_f16_e32 v23, v11, v13
	v_sub_f16_e32 v33, v15, v35
	v_sub_f16_e32 v11, v13, v11
	v_add_f16_e32 v13, v35, v15
	v_sub_f16_e32 v15, v16, v46
	v_pack_b32_f16 v16, v19, v22
	v_pack_b32_f16 v18, v50, v51
	v_sub_f16_e32 v21, v30, v45
	ds_write_b32 v57, v6 offset:480
	ds_write_b32 v57, v16 offset:960
	;; [unrolled: 1-line block ×3, first 2 shown]
	v_pack_b32_f16 v6, v8, v34
	v_sub_f16_e32 v49, v44, v9
	v_add_f16_e32 v52, v17, v48
	v_pack_b32_f16 v8, v10, v12
	v_add_f16_e32 v9, v9, v44
	v_sub_f16_e32 v17, v48, v17
	v_pack_b32_f16 v10, v14, v20
	v_pack_b32_f16 v4, v36, v4
	;; [unrolled: 1-line block ×3, first 2 shown]
	v_add_f16_e32 v19, v45, v30
	v_pack_b32_f16 v7, v7, v21
	ds_write_b32 v57, v6 offset:1920
	ds_write_b32 v57, v8 offset:2400
	;; [unrolled: 1-line block ×3, first 2 shown]
	ds_write2_b32 v57, v4, v5 offset1:56
	ds_write_b32 v57, v7 offset:704
	v_pack_b32_f16 v4, v23, v33
	v_pack_b32_f16 v5, v49, v52
	;; [unrolled: 1-line block ×5, first 2 shown]
	ds_write_b32 v57, v4 offset:1184
	ds_write_b32 v57, v5 offset:1664
	;; [unrolled: 1-line block ×5, first 2 shown]
	s_and_saveexec_b32 s1, s0
	s_cbranch_execz .LBB0_37
; %bb.36:
	v_mul_f16_sdwa v6, v0, v43 dst_sel:DWORD dst_unused:UNUSED_PAD src0_sel:WORD_1 src1_sel:DWORD
	v_mul_f16_sdwa v8, v1, v55 dst_sel:DWORD dst_unused:UNUSED_PAD src0_sel:WORD_1 src1_sel:DWORD
	;; [unrolled: 1-line block ×8, first 2 shown]
	v_fmac_f16_e32 v6, v0, v42
	v_fmac_f16_e32 v8, v1, v37
	v_fma_f16 v9, v32, v111, -v9
	v_fma_f16 v0, v0, v43, -v11
	v_mul_f16_sdwa v11, v2, v38 dst_sel:DWORD dst_unused:UNUSED_PAD src0_sel:WORD_1 src1_sel:DWORD
	v_mul_f16_sdwa v15, v3, v39 dst_sel:DWORD dst_unused:UNUSED_PAD src0_sel:WORD_1 src1_sel:DWORD
	v_fma_f16 v13, v31, v109, -v13
	v_fma_f16 v1, v1, v55, -v14
	v_fmac_f16_e32 v4, v3, v39
	v_fmac_f16_e32 v5, v2, v38
	v_fma_f16 v2, v2, v56, -v11
	v_fma_f16 v3, v3, v108, -v15
	v_add_f16_e32 v11, v9, v0
	v_add_f16_e32 v14, v13, v1
	v_mul_f16_sdwa v7, v32, v111 dst_sel:DWORD dst_unused:UNUSED_PAD src0_sel:WORD_1 src1_sel:DWORD
	v_mul_f16_sdwa v12, v31, v109 dst_sel:DWORD dst_unused:UNUSED_PAD src0_sel:WORD_1 src1_sel:DWORD
	v_add_f16_e32 v16, v2, v3
	v_sub_f16_e32 v10, v4, v5
	v_add_f16_e32 v18, v14, v11
	v_fmac_f16_e32 v7, v32, v110
	v_fmac_f16_e32 v12, v31, v40
	v_sub_f16_e32 v20, v11, v16
	v_add_f16_e32 v4, v5, v4
	v_add_f16_e32 v18, v16, v18
	v_sub_f16_e32 v16, v16, v14
	v_sub_f16_e32 v17, v6, v7
	v_mul_f16_e32 v20, 0x3a52, v20
	v_add_f16_e32 v6, v7, v6
	v_add_f16_e32 v22, v47, v18
	;; [unrolled: 1-line block ×3, first 2 shown]
	v_sub_f16_e32 v2, v3, v2
	v_fmamk_f16 v29, v16, 0x2b26, v20
	v_sub_f16_e32 v1, v1, v13
	v_fmamk_f16 v18, v18, 0xbcab, v22
	v_sub_f16_e32 v0, v0, v9
	v_sub_f16_e32 v15, v8, v12
	v_add_f16_e32 v12, v7, v6
	v_sub_f16_e32 v3, v6, v4
	v_add_f16_e32 v5, v29, v18
	v_sub_f16_e32 v9, v2, v1
	v_sub_f16_e32 v29, v0, v2
	v_add_f16_e32 v2, v2, v1
	v_sub_f16_e32 v19, v10, v15
	v_add_f16_e32 v12, v4, v12
	;; [unrolled: 2-line block ×3, first 2 shown]
	v_mul_f16_e32 v3, 0x3a52, v3
	v_sub_f16_e32 v4, v4, v7
	v_sub_f16_e32 v15, v15, v17
	v_add_f16_e32 v2, v2, v0
	v_sub_f16_e32 v0, v1, v0
	v_mul_f16_e32 v19, 0x3846, v19
	v_mul_f16_e32 v8, 0x2b26, v16
	v_add_f16_e32 v16, v41, v12
	v_mul_f16_e32 v9, 0x3846, v9
	v_sub_f16_e32 v11, v14, v11
	v_add_f16_e32 v10, v10, v17
	v_fmamk_f16 v17, v4, 0x2b26, v3
	v_mul_f16_e32 v31, 0xbb00, v15
	v_mul_f16_e32 v4, 0x2b26, v4
	v_sub_f16_e32 v6, v7, v6
	v_mul_f16_e32 v7, 0xbb00, v0
	v_fmamk_f16 v23, v21, 0xb574, v19
	v_fmamk_f16 v12, v12, 0xbcab, v16
	;; [unrolled: 1-line block ×3, first 2 shown]
	v_fma_f16 v20, v11, 0xb9e0, -v20
	v_fma_f16 v8, v11, 0x39e0, -v8
	;; [unrolled: 1-line block ×8, first 2 shown]
	v_fmac_f16_e32 v23, 0xb70e, v10
	v_add_f16_e32 v17, v17, v12
	v_fmac_f16_e32 v30, 0xb70e, v2
	v_add_f16_e32 v8, v8, v18
	v_fmac_f16_e32 v11, 0xb70e, v10
	v_fmac_f16_e32 v1, 0xb70e, v10
	v_add_f16_e32 v15, v20, v18
	v_add_f16_e32 v3, v3, v12
	v_fmac_f16_e32 v7, 0xb70e, v2
	v_fmac_f16_e32 v0, 0xb70e, v2
	v_add_f16_e32 v2, v4, v12
	v_add_f16_e32 v13, v23, v5
	v_sub_f16_e32 v10, v8, v11
	v_add_f16_e32 v4, v11, v8
	v_sub_f16_e32 v5, v5, v23
	v_add_f16_e32 v8, v30, v17
	v_add_f16_e32 v6, v1, v15
	v_sub_f16_e32 v9, v3, v7
	v_sub_f16_e32 v1, v15, v1
	v_add_f16_e32 v3, v7, v3
	v_sub_f16_e32 v7, v2, v0
	v_add_f16_e32 v0, v0, v2
	v_sub_f16_e32 v14, v17, v30
	v_pack_b32_f16 v2, v16, v22
	v_pack_b32_f16 v5, v8, v5
	;; [unrolled: 1-line block ×4, first 2 shown]
	v_add_nc_u32_e32 v4, 0x400, v57
	v_pack_b32_f16 v0, v0, v10
	v_pack_b32_f16 v6, v9, v6
	v_add_nc_u32_e32 v7, 0x800, v57
	v_pack_b32_f16 v8, v14, v13
	ds_write2_b32 v57, v2, v5 offset0:112 offset1:232
	ds_write2_b32 v4, v1, v3 offset0:96 offset1:216
	;; [unrolled: 1-line block ×3, first 2 shown]
	ds_write_b32 v57, v8 offset:3328
.LBB0_37:
	s_or_b32 exec_lo, exec_lo, s1
	s_waitcnt lgkmcnt(0)
	s_barrier
	buffer_gl0_inv
	ds_read2_b32 v[2:3], v57 offset1:56
	v_add_nc_u32_e32 v0, 0x400, v57
	s_mov_b32 s4, 0x13813814
	s_mov_b32 s5, 0x3f538138
	ds_read2_b32 v[0:1], v0 offset0:80 offset1:164
	s_waitcnt lgkmcnt(1)
	v_lshrrev_b32_e32 v4, 16, v2
	v_mul_f16_sdwa v5, v72, v2 dst_sel:DWORD dst_unused:UNUSED_PAD src0_sel:WORD_1 src1_sel:DWORD
	v_lshrrev_b32_e32 v19, 16, v3
	v_mul_f16_sdwa v6, v72, v4 dst_sel:DWORD dst_unused:UNUSED_PAD src0_sel:WORD_1 src1_sel:DWORD
	v_fma_f16 v4, v72, v4, -v5
	s_waitcnt lgkmcnt(0)
	v_lshrrev_b32_e32 v8, 16, v1
	v_mul_f16_sdwa v9, v70, v1 dst_sel:DWORD dst_unused:UNUSED_PAD src0_sel:WORD_1 src1_sel:DWORD
	v_mul_f16_sdwa v12, v71, v19 dst_sel:DWORD dst_unused:UNUSED_PAD src0_sel:WORD_1 src1_sel:DWORD
	v_fmac_f16_e32 v6, v72, v2
	v_cvt_f32_f16_e32 v2, v4
	v_mul_f16_sdwa v13, v70, v8 dst_sel:DWORD dst_unused:UNUSED_PAD src0_sel:WORD_1 src1_sel:DWORD
	v_fmac_f16_e32 v12, v71, v3
	v_cvt_f32_f16_e32 v10, v6
	v_cvt_f64_f32_e32 v[4:5], v2
	v_fma_f16 v2, v70, v8, -v9
	v_fmac_f16_e32 v13, v70, v1
	v_mad_u64_u32 v[6:7], null, s10, v28, 0
	v_cvt_f64_f32_e32 v[8:9], v10
	v_cvt_f32_f16_e32 v2, v2
	v_cvt_f32_f16_e32 v14, v12
	;; [unrolled: 1-line block ×3, first 2 shown]
	v_mad_u64_u32 v[10:11], null, s8, v69, 0
	v_cvt_f64_f32_e32 v[1:2], v2
	v_mul_f16_sdwa v3, v71, v3 dst_sel:DWORD dst_unused:UNUSED_PAD src0_sel:WORD_1 src1_sel:DWORD
	v_cvt_f64_f32_e32 v[15:16], v15
	v_fma_f16 v3, v71, v19, -v3
	v_mul_f64 v[4:5], v[4:5], s[4:5]
	v_cvt_f32_f16_e32 v3, v3
	v_mad_u64_u32 v[12:13], null, s11, v28, v[7:8]
	v_cvt_f64_f32_e32 v[13:14], v14
	v_mul_f64 v[8:9], v[8:9], s[4:5]
	v_mul_f64 v[1:2], v[1:2], s[4:5]
	v_mov_b32_e32 v7, v12
	v_mad_u64_u32 v[17:18], null, s9, v69, v[11:12]
	v_lshlrev_b64 v[6:7], 2, v[6:7]
	v_and_or_b32 v4, 0x1ff, v5, v4
	v_mov_b32_e32 v11, v17
	v_add_co_u32 v17, s0, s6, v6
	v_add_co_ci_u32_e64 v18, s0, s7, v7, s0
	v_cmp_ne_u32_e64 s0, 0, v4
	v_mul_f64 v[6:7], v[13:14], s[4:5]
	v_mul_f64 v[12:13], v[15:16], s[4:5]
	v_and_or_b32 v8, 0x1ff, v9, v8
	v_lshrrev_b32_e32 v14, 8, v5
	v_cndmask_b32_e64 v4, 0, 1, s0
	v_lshrrev_b32_e32 v16, 8, v9
	v_bfe_u32 v19, v9, 20, 11
	v_cmp_ne_u32_e64 s0, 0, v8
	v_and_or_b32 v1, 0x1ff, v2, v1
	v_bfe_u32 v15, v5, 20, 11
	v_and_or_b32 v4, 0xffe, v14, v4
	v_sub_nc_u32_e32 v23, 0x3f1, v19
	v_cndmask_b32_e64 v8, 0, 1, s0
	v_cmp_ne_u32_e64 s0, 0, v1
	v_sub_nc_u32_e32 v20, 0x3f1, v15
	v_add_nc_u32_e32 v15, 0xfffffc10, v15
	v_bfe_u32 v22, v2, 20, 11
	v_and_or_b32 v8, 0xffe, v16, v8
	v_cndmask_b32_e64 v1, 0, 1, s0
	v_med3_i32 v16, v23, 0, 13
	v_cmp_ne_u32_e64 s0, 0, v4
	v_med3_i32 v14, v20, 0, 13
	v_or_b32_e32 v32, 0x1000, v8
	v_and_or_b32 v12, 0x1ff, v13, v12
	v_or_b32_e32 v23, 0x1000, v4
	v_lshl_or_b32 v30, v15, 12, v4
	v_cndmask_b32_e64 v4, 0, 1, s0
	v_lshrrev_b32_e32 v33, v16, v32
	v_cmp_ne_u32_e64 s0, 0, v12
	v_lshrrev_b32_e32 v21, 8, v2
	v_add_nc_u32_e32 v19, 0xfffffc10, v19
	v_sub_nc_u32_e32 v29, 0x3f1, v22
	v_lshrrev_b32_e32 v34, v14, v23
	v_cndmask_b32_e64 v12, 0, 1, s0
	v_cmp_ne_u32_e64 s0, 0, v8
	v_lshlrev_b32_e32 v16, v16, v33
	v_lshrrev_b32_e32 v20, 8, v13
	v_bfe_u32 v28, v13, 20, 11
	v_and_or_b32 v1, 0xffe, v21, v1
	v_med3_i32 v21, v29, 0, 13
	v_lshl_or_b32 v29, v19, 12, v8
	v_cndmask_b32_e64 v8, 0, 1, s0
	v_lshlrev_b32_e32 v14, v14, v34
	v_cmp_ne_u32_e64 s0, v16, v32
	v_sub_nc_u32_e32 v31, 0x3f1, v28
	v_and_or_b32 v12, 0xffe, v20, v12
	v_add_nc_u32_e32 v28, 0xfffffc10, v28
	v_lshl_or_b32 v8, v8, 9, 0x7c00
	v_cndmask_b32_e64 v16, 0, 1, s0
	v_cmp_ne_u32_e64 s0, v14, v23
	v_med3_i32 v20, v31, 0, 13
	v_or_b32_e32 v23, 0x1000, v12
	v_or_b32_e32 v31, 0x1000, v1
	;; [unrolled: 1-line block ×3, first 2 shown]
	v_cndmask_b32_e64 v14, 0, 1, s0
	v_cmp_gt_i32_e64 s0, 1, v19
	v_lshrrev_b32_e32 v33, v20, v23
	v_lshrrev_b32_e32 v9, 16, v9
	v_lshl_or_b32 v4, v4, 9, 0x7c00
	v_or_b32_e32 v14, v34, v14
	v_cndmask_b32_e64 v16, v29, v16, s0
	v_cmp_gt_i32_e64 s0, 1, v15
	v_lshlrev_b32_e32 v20, v20, v33
	v_lshl_or_b32 v29, v28, 12, v12
	v_lshrrev_b32_e32 v34, v21, v31
	v_lshrrev_b32_e32 v5, 16, v5
	v_cndmask_b32_e64 v14, v30, v14, s0
	v_and_b32_e32 v30, 7, v16
	v_cmp_ne_u32_e64 s0, v20, v23
	v_lshrrev_b32_e32 v16, 2, v16
	v_add_nc_u32_e32 v22, 0xfffffc10, v22
	v_and_b32_e32 v35, 7, v14
	v_cmp_eq_u32_e64 s1, 3, v30
	v_cndmask_b32_e64 v20, 0, 1, s0
	v_cmp_lt_i32_e64 s0, 5, v30
	v_lshrrev_b32_e32 v14, 2, v14
	v_cmp_lt_i32_e64 s2, 5, v35
	v_cmp_eq_u32_e64 s3, 3, v35
	v_or_b32_e32 v20, v33, v20
	s_or_b32 s0, s1, s0
	v_lshl_or_b32 v32, v22, 12, v1
	v_add_co_ci_u32_e64 v16, s0, 0, v16, s0
	s_or_b32 s0, s3, s2
	v_lshlrev_b64 v[10:11], 2, v[10:11]
	v_add_co_ci_u32_e64 v14, s0, 0, v14, s0
	v_cmp_gt_i32_e64 s0, 31, v19
	v_cmp_eq_u32_e64 s2, 0x40f, v28
	v_and_or_b32 v6, 0x1ff, v7, v6
	v_lshrrev_b32_e32 v13, 16, v13
	v_lshrrev_b32_e32 v2, 16, v2
	v_cndmask_b32_e64 v16, 0x7c00, v16, s0
	v_cmp_gt_i32_e64 s0, 31, v15
	v_cndmask_b32_e64 v14, 0x7c00, v14, s0
	v_cmp_eq_u32_e64 s0, 0x40f, v19
	v_lshlrev_b32_e32 v19, v21, v34
	v_cndmask_b32_e64 v8, v16, v8, s0
	v_cmp_gt_i32_e64 s0, 1, v28
	v_and_or_b32 v8, 0x8000, v9, v8
	v_cndmask_b32_e64 v16, v29, v20, s0
	v_cmp_eq_u32_e64 s0, 0x40f, v15
	v_and_b32_e32 v9, 7, v16
	v_cndmask_b32_e64 v4, v14, v4, s0
	v_cmp_ne_u32_e64 s0, v19, v31
	v_cmp_eq_u32_e64 s1, 3, v9
	v_and_or_b32 v4, 0x8000, v5, v4
	v_cndmask_b32_e64 v14, 0, 1, s0
	v_cmp_lt_i32_e64 s0, 5, v9
	v_lshrrev_b32_e32 v9, 2, v16
	v_and_b32_e32 v5, 0xffff, v8
	v_or_b32_e32 v8, v34, v14
	s_or_b32 s0, s1, s0
	v_add_co_ci_u32_e64 v14, s0, 0, v9, s0
	v_cmp_ne_u32_e64 s0, 0, v12
	v_lshl_or_b32 v5, v4, 16, v5
	v_cvt_f64_f32_e32 v[3:4], v3
	v_cndmask_b32_e64 v12, 0, 1, s0
	v_cmp_gt_i32_e64 s0, 1, v22
	v_lshl_or_b32 v12, v12, 9, 0x7c00
	v_cndmask_b32_e64 v15, v32, v8, s0
	v_add_co_u32 v8, s0, v17, v10
	v_add_co_ci_u32_e64 v9, s0, v18, v11, s0
	v_and_b32_e32 v10, 7, v15
	v_cmp_gt_i32_e64 s0, 31, v28
	global_store_dword v[8:9], v5, off
	v_lshrrev_b32_e32 v5, 2, v15
	v_cmp_eq_u32_e64 s1, 3, v10
	v_cndmask_b32_e64 v11, 0x7c00, v14, s0
	v_cmp_lt_i32_e64 s0, 5, v10
	v_mul_f64 v[3:4], v[3:4], s[4:5]
	v_lshrrev_b32_e32 v14, 8, v7
	v_bfe_u32 v15, v7, 20, 11
	v_cndmask_b32_e64 v10, v11, v12, s2
	s_or_b32 s0, s1, s0
	s_mul_i32 s1, s9, 0x1a4
	v_add_co_ci_u32_e64 v11, s0, 0, v5, s0
	v_cmp_ne_u32_e64 s0, 0, v1
	v_add_nc_u32_e32 v5, 0x600, v57
	v_and_or_b32 v10, 0x8000, v13, v10
	s_mul_hi_u32 s2, s8, 0x1a4
	v_lshrrev_b32_e32 v7, 16, v7
	v_cndmask_b32_e64 v1, 0, 1, s0
	v_cmp_ne_u32_e64 s0, 0, v6
	ds_read2_b32 v[5:6], v5 offset0:92 offset1:148
	s_add_i32 s1, s2, s1
	v_and_b32_e32 v10, 0xffff, v10
	v_lshl_or_b32 v1, v1, 9, 0x7c00
	v_cndmask_b32_e64 v12, 0, 1, s0
	v_cmp_gt_i32_e64 s0, 31, v22
	v_and_or_b32 v3, 0x1ff, v4, v3
	v_bfe_u32 v16, v4, 20, 11
	v_and_or_b32 v12, 0xffe, v14, v12
	v_cndmask_b32_e64 v11, 0x7c00, v11, s0
	v_sub_nc_u32_e32 v14, 0x3f1, v15
	v_cmp_eq_u32_e64 s0, 0x40f, v22
	v_med3_i32 v14, v14, 0, 13
	v_cndmask_b32_e64 v1, v11, v1, s0
	v_or_b32_e32 v11, 0x1000, v12
	v_cmp_ne_u32_e64 s0, 0, v3
	v_lshrrev_b32_e32 v3, 8, v4
	s_waitcnt lgkmcnt(0)
	v_lshrrev_b32_e32 v17, 16, v5
	v_and_or_b32 v13, 0x8000, v2, v1
	v_lshrrev_b32_e32 v1, v14, v11
	v_cndmask_b32_e64 v2, 0, 1, s0
	v_lshrrev_b32_e32 v4, 16, v4
	v_mul_f16_sdwa v18, v68, v17 dst_sel:DWORD dst_unused:UNUSED_PAD src0_sel:WORD_1 src1_sel:DWORD
	v_lshl_or_b32 v13, v13, 16, v10
	v_lshlrev_b32_e32 v14, v14, v1
	v_and_or_b32 v3, 0xffe, v3, v2
	v_sub_nc_u32_e32 v2, 0x3f1, v16
	v_fmac_f16_e32 v18, v68, v5
	v_mul_f16_sdwa v5, v68, v5 dst_sel:DWORD dst_unused:UNUSED_PAD src0_sel:WORD_1 src1_sel:DWORD
	v_cmp_ne_u32_e64 s0, v14, v11
	v_add_nc_u32_e32 v14, 0xfffffc10, v15
	v_or_b32_e32 v15, 0x1000, v3
	v_med3_i32 v2, v2, 0, 13
	v_cvt_f32_f16_e32 v18, v18
	v_cndmask_b32_e64 v11, 0, 1, s0
	v_cmp_gt_i32_e64 s0, 1, v14
	v_fma_f16 v5, v68, v17, -v5
	v_lshrrev_b32_e32 v19, v2, v15
	v_add_nc_u32_e32 v16, 0xfffffc10, v16
	v_or_b32_e32 v1, v1, v11
	v_lshl_or_b32 v11, v14, 12, v12
	v_cvt_f32_f16_e32 v5, v5
	v_lshlrev_b32_e32 v20, v2, v19
	v_lshl_or_b32 v17, v16, 12, v3
	v_cmp_gt_i32_e64 s2, 1, v16
	v_cndmask_b32_e64 v11, v11, v1, s0
	v_cvt_f64_f32_e32 v[1:2], v18
	s_mul_i32 s0, s8, 0x1a4
	s_lshl_b64 s[6:7], s[0:1], 2
	v_cmp_ne_u32_e64 s0, v20, v15
	v_and_b32_e32 v10, 7, v11
	v_lshrrev_b32_e32 v18, 2, v11
	v_cndmask_b32_e64 v15, 0, 1, s0
	v_add_co_u32 v8, s0, v8, s6
	v_add_co_ci_u32_e64 v9, s0, s7, v9, s0
	v_cmp_lt_i32_e64 s0, 5, v10
	v_cmp_eq_u32_e64 s1, 3, v10
	v_or_b32_e32 v15, v19, v15
	v_cvt_f64_f32_e32 v[10:11], v5
	global_store_dword v[8:9], v13, off
	s_or_b32 s0, s1, s0
	v_cndmask_b32_e64 v15, v17, v15, s2
	v_add_co_ci_u32_e64 v5, s0, 0, v18, s0
	v_cmp_ne_u32_e64 s0, 0, v12
	v_mul_f64 v[1:2], v[1:2], s[4:5]
	v_and_b32_e32 v17, 7, v15
	v_lshrrev_b32_e32 v15, 2, v15
	v_cmp_eq_u32_e64 s2, 0x40f, v14
	v_cndmask_b32_e64 v12, 0, 1, s0
	v_cmp_gt_i32_e64 s0, 31, v14
	v_cmp_eq_u32_e64 s1, 3, v17
	v_lshl_or_b32 v12, v12, 9, 0x7c00
	v_cndmask_b32_e64 v5, 0x7c00, v5, s0
	v_cmp_lt_i32_e64 s0, 5, v17
	v_mul_f64 v[10:11], v[10:11], s[4:5]
	v_cndmask_b32_e64 v5, v5, v12, s2
	s_or_b32 s0, s1, s0
	ds_read2_b32 v[12:13], v57 offset0:112 offset1:168
	v_add_co_ci_u32_e64 v14, s0, 0, v15, s0
	v_cmp_ne_u32_e64 s0, 0, v3
	v_and_or_b32 v5, 0x8000, v7, v5
	v_and_or_b32 v1, 0x1ff, v2, v1
	v_bfe_u32 v17, v2, 20, 11
	v_lshrrev_b32_e32 v15, 8, v2
	v_cndmask_b32_e64 v3, 0, 1, s0
	v_cmp_gt_i32_e64 s0, 31, v16
	v_and_b32_e32 v5, 0xffff, v5
	v_sub_nc_u32_e32 v7, 0x3f1, v17
	v_add_nc_u32_e32 v17, 0xfffffc10, v17
	v_lshl_or_b32 v3, v3, 9, 0x7c00
	v_cndmask_b32_e64 v14, 0x7c00, v14, s0
	v_cmp_ne_u32_e64 s0, 0, v1
	s_mul_i32 s1, s9, 0xfffffe94
	v_lshrrev_b32_e32 v18, 8, v11
	v_cndmask_b32_e64 v1, 0, 1, s0
	v_cmp_eq_u32_e64 s0, 0x40f, v16
	v_bfe_u32 v19, v11, 20, 11
	v_and_or_b32 v1, 0xffe, v15, v1
	v_cndmask_b32_e64 v3, v14, v3, s0
	s_waitcnt lgkmcnt(0)
	v_lshrrev_b32_e32 v14, 16, v12
	s_mul_hi_u32 s0, s8, 0xfffffe94
	v_or_b32_e32 v16, 0x1000, v1
	v_and_or_b32 v15, 0x8000, v4, v3
	v_med3_i32 v3, v7, 0, 13
	v_mul_f16_sdwa v4, v67, v14 dst_sel:DWORD dst_unused:UNUSED_PAD src0_sel:WORD_1 src1_sel:DWORD
	v_and_or_b32 v7, 0x1ff, v11, v10
	s_sub_i32 s2, s0, s8
	v_lshrrev_b32_e32 v10, v3, v16
	v_fmac_f16_e32 v4, v67, v12
	v_cmp_ne_u32_e64 s0, 0, v7
	v_mul_f16_sdwa v12, v67, v12 dst_sel:DWORD dst_unused:UNUSED_PAD src0_sel:WORD_1 src1_sel:DWORD
	s_add_i32 s3, s2, s1
	v_lshlrev_b32_e32 v20, v3, v10
	v_cvt_f32_f16_e32 v4, v4
	v_cndmask_b32_e64 v7, 0, 1, s0
	v_fma_f16 v12, v67, v14, -v12
	s_mul_i32 s2, s8, 0xfffffe94
	v_cmp_ne_u32_e64 s0, v20, v16
	v_cvt_f64_f32_e32 v[3:4], v4
	v_and_or_b32 v18, 0xffe, v18, v7
	v_sub_nc_u32_e32 v7, 0x3f1, v19
	v_cvt_f32_f16_e32 v12, v12
	v_cndmask_b32_e64 v16, 0, 1, s0
	v_cmp_gt_i32_e64 s0, 1, v17
	v_or_b32_e32 v20, 0x1000, v18
	v_med3_i32 v7, v7, 0, 13
	s_lshl_b64 s[8:9], s[2:3], 2
	v_or_b32_e32 v10, v10, v16
	v_lshl_or_b32 v16, v17, 12, v1
	v_add_nc_u32_e32 v19, 0xfffffc10, v19
	v_lshrrev_b32_e32 v21, v7, v20
	v_cndmask_b32_e64 v10, v16, v10, s0
	v_lshl_or_b32 v16, v15, 16, v5
	v_lshlrev_b32_e32 v7, v7, v21
	v_cvt_f64_f32_e32 v[14:15], v12
	v_lshl_or_b32 v12, v19, 12, v18
	v_and_b32_e32 v5, 7, v10
	v_cmp_ne_u32_e64 s0, v7, v20
	v_mul_f64 v[3:4], v[3:4], s[4:5]
	v_cmp_eq_u32_e64 s1, 3, v5
	v_cndmask_b32_e64 v7, 0, 1, s0
	v_cmp_lt_i32_e64 s0, 5, v5
	v_or_b32_e32 v5, v21, v7
	v_add_co_u32 v7, s2, v8, s8
	v_add_co_ci_u32_e64 v8, s2, s9, v9, s2
	v_lshrrev_b32_e32 v9, 2, v10
	s_or_b32 s0, s1, s0
	v_cmp_gt_i32_e64 s2, 1, v19
	v_lshrrev_b32_e32 v21, 16, v6
	global_store_dword v[7:8], v16, off
	v_add_co_ci_u32_e64 v9, s0, 0, v9, s0
	v_cmp_ne_u32_e64 s0, 0, v1
	v_and_or_b32 v3, 0x1ff, v4, v3
	v_cndmask_b32_e64 v5, v12, v5, s2
	v_cndmask_b32_e64 v1, 0, 1, s0
	v_cmp_gt_i32_e64 s0, 31, v17
	v_cmp_ne_u32_e64 s2, 0, v3
	v_and_b32_e32 v12, 7, v5
	v_lshl_or_b32 v1, v1, 9, 0x7c00
	v_cndmask_b32_e64 v20, 0x7c00, v9, s0
	v_mul_f64 v[9:10], v[14:15], s[4:5]
	v_cndmask_b32_e64 v3, 0, 1, s2
	v_cmp_eq_u32_e64 s2, 0x40f, v17
	v_cmp_lt_i32_e64 s0, 5, v12
	v_cmp_eq_u32_e64 s1, 3, v12
	v_lshrrev_b32_e32 v12, 8, v4
	v_bfe_u32 v14, v4, 20, 11
	v_cndmask_b32_e64 v15, v20, v1, s2
	v_lshrrev_b32_e32 v1, 2, v5
	s_or_b32 s0, s1, s0
	v_and_or_b32 v3, 0xffe, v12, v3
	v_sub_nc_u32_e32 v5, 0x3f1, v14
	v_lshrrev_b32_e32 v17, 16, v2
	v_add_co_ci_u32_e64 v1, s0, 0, v1, s0
	v_or_b32_e32 v12, 0x1000, v3
	v_med3_i32 v5, v5, 0, 13
	v_cmp_gt_i32_e64 s0, 31, v19
	v_and_or_b32 v15, 0x8000, v17, v15
	v_cndmask_b32_e64 v20, 0x7c00, v1, s0
	v_lshrrev_b32_e32 v1, v5, v12
	v_and_or_b32 v2, 0x1ff, v10, v9
	v_cmp_ne_u32_e64 s0, 0, v18
	v_mul_f16_sdwa v18, v66, v21 dst_sel:DWORD dst_unused:UNUSED_PAD src0_sel:WORD_1 src1_sel:DWORD
	v_lshrrev_b32_e32 v22, 8, v10
	v_lshlrev_b32_e32 v5, v5, v1
	v_bfe_u32 v23, v10, 20, 11
	v_cndmask_b32_e64 v9, 0, 1, s0
	v_cmp_ne_u32_e64 s0, 0, v2
	v_fmac_f16_e32 v18, v66, v6
	v_lshrrev_b32_e32 v10, 16, v10
	v_add_nc_u32_e32 v17, 0xfffffc10, v23
	v_lshl_or_b32 v9, v9, 9, 0x7c00
	v_cndmask_b32_e64 v2, 0, 1, s0
	v_cmp_ne_u32_e64 s0, v5, v12
	v_add_nc_u32_e32 v12, 0xfffffc10, v14
	v_cvt_f32_f16_e32 v14, v18
	v_and_or_b32 v18, 0xffe, v22, v2
	v_cndmask_b32_e64 v5, 0, 1, s0
	v_sub_nc_u32_e32 v22, 0x3f1, v23
	v_lshl_or_b32 v28, v12, 12, v3
	v_cmp_gt_i32_e64 s0, 1, v12
	v_or_b32_e32 v5, v1, v5
	v_cvt_f64_f32_e32 v[1:2], v14
	v_or_b32_e32 v14, 0x1000, v18
	v_med3_i32 v22, v22, 0, 13
	v_cndmask_b32_e64 v28, v28, v5, s0
	v_mul_f16_sdwa v5, v66, v6 dst_sel:DWORD dst_unused:UNUSED_PAD src0_sel:WORD_1 src1_sel:DWORD
	v_cmp_eq_u32_e64 s0, 0x40f, v19
	v_lshrrev_b32_e32 v29, v22, v14
	v_fma_f16 v5, v66, v21, -v5
	v_cndmask_b32_e64 v6, v20, v9, s0
	v_lshlrev_b32_e32 v19, v22, v29
	v_lshrrev_b32_e32 v9, 16, v11
	v_and_b32_e32 v11, 7, v28
	v_cvt_f32_f16_e32 v5, v5
	v_cmp_ne_u32_e64 s1, v19, v14
	v_and_or_b32 v9, 0x8000, v9, v6
	v_cmp_lt_i32_e64 s0, 5, v11
	v_cvt_f64_f32_e32 v[5:6], v5
	v_lshl_or_b32 v19, v17, 12, v18
	v_mul_f64 v[1:2], v[1:2], s[4:5]
	v_cndmask_b32_e64 v14, 0, 1, s1
	v_cmp_eq_u32_e64 s1, 3, v11
	v_and_b32_e32 v11, 0xffff, v15
	v_lshrrev_b32_e32 v15, 2, v28
	v_or_b32_e32 v14, v29, v14
	s_or_b32 s0, s1, s0
	v_add_co_ci_u32_e64 v15, s0, 0, v15, s0
	v_cmp_ne_u32_e64 s0, 0, v3
	v_cndmask_b32_e64 v3, 0, 1, s0
	v_cmp_gt_i32_e64 s0, 1, v17
	v_mul_f64 v[5:6], v[5:6], s[4:5]
	v_lshl_or_b32 v3, v3, 9, 0x7c00
	v_cndmask_b32_e64 v14, v19, v14, s0
	v_cmp_gt_i32_e64 s0, 31, v12
	v_and_or_b32 v1, 0x1ff, v2, v1
	v_lshl_or_b32 v19, v9, 16, v11
	v_and_b32_e32 v9, 7, v14
	v_cndmask_b32_e64 v15, 0x7c00, v15, s0
	v_cmp_eq_u32_e64 s0, 0x40f, v12
	v_cmp_ne_u32_e64 s2, 0, v1
	v_lshrrev_b32_e32 v12, 16, v4
	v_cmp_eq_u32_e64 s1, 3, v9
	v_lshrrev_b32_e32 v4, 8, v2
	v_cndmask_b32_e64 v11, v15, v3, s0
	v_cmp_lt_i32_e64 s0, 5, v9
	v_lshrrev_b32_e32 v3, 2, v14
	v_cndmask_b32_e64 v1, 0, 1, s2
	v_lshrrev_b32_e32 v14, 16, v13
	v_bfe_u32 v9, v2, 20, 11
	s_or_b32 s0, s1, s0
	v_and_or_b32 v11, 0x8000, v12, v11
	v_add_co_ci_u32_e64 v3, s0, 0, v3, s0
	v_and_or_b32 v15, 0xffe, v4, v1
	v_mul_f16_sdwa v4, v65, v14 dst_sel:DWORD dst_unused:UNUSED_PAD src0_sel:WORD_1 src1_sel:DWORD
	v_cmp_ne_u32_e64 s0, 0, v18
	v_sub_nc_u32_e32 v1, 0x3f1, v9
	v_and_or_b32 v5, 0x1ff, v6, v5
	v_or_b32_e32 v18, 0x1000, v15
	v_fmac_f16_e32 v4, v65, v13
	v_cndmask_b32_e64 v16, 0, 1, s0
	v_cmp_gt_i32_e64 s0, 31, v17
	v_med3_i32 v1, v1, 0, 13
	v_lshrrev_b32_e32 v22, 8, v6
	v_bfe_u32 v23, v6, 20, 11
	v_lshl_or_b32 v16, v16, 9, 0x7c00
	v_cndmask_b32_e64 v20, 0x7c00, v3, s0
	v_cvt_f32_f16_e32 v3, v4
	v_lshrrev_b32_e32 v21, v1, v18
	v_cmp_ne_u32_e64 s0, 0, v5
	v_and_b32_e32 v11, 0xffff, v11
	v_lshrrev_b32_e32 v6, 16, v6
	v_cvt_f64_f32_e32 v[3:4], v3
	v_lshlrev_b32_e32 v1, v1, v21
	v_cndmask_b32_e64 v5, 0, 1, s0
	v_cmp_eq_u32_e64 s0, 0x40f, v17
	v_sub_nc_u32_e32 v17, 0x3f1, v23
	v_and_or_b32 v5, 0xffe, v22, v5
	v_cndmask_b32_e64 v16, v20, v16, s0
	v_cmp_ne_u32_e64 s0, v1, v18
	v_add_nc_u32_e32 v18, 0xfffffc10, v9
	v_med3_i32 v17, v17, 0, 13
	v_or_b32_e32 v9, 0x1000, v5
	v_and_or_b32 v10, 0x8000, v10, v16
	v_cndmask_b32_e64 v1, 0, 1, s0
	v_lshl_or_b32 v12, v18, 12, v15
	v_cmp_gt_i32_e64 s0, 1, v18
	v_lshrrev_b32_e32 v20, v17, v9
	v_add_nc_u32_e32 v16, 0xfffffc10, v23
	v_or_b32_e32 v1, v21, v1
	v_mul_f64 v[3:4], v[3:4], s[4:5]
	v_cmp_gt_i32_e64 s2, 1, v16
	v_cndmask_b32_e64 v1, v12, v1, s0
	v_lshlrev_b32_e32 v12, v17, v20
	v_lshl_or_b32 v17, v10, 16, v11
	v_mul_f16_sdwa v10, v65, v13 dst_sel:DWORD dst_unused:UNUSED_PAD src0_sel:WORD_1 src1_sel:DWORD
	v_add_co_u32 v7, s0, v7, s6
	v_add_co_ci_u32_e64 v8, s0, s7, v8, s0
	v_cmp_ne_u32_e64 s0, v12, v9
	v_fma_f16 v13, v65, v14, -v10
	v_and_b32_e32 v11, 7, v1
	v_lshrrev_b32_e32 v1, 2, v1
	global_store_dword v[7:8], v19, off
	v_cndmask_b32_e64 v12, 0, 1, s0
	v_cvt_f32_f16_e32 v13, v13
	v_add_co_u32 v9, s0, v7, s8
	v_add_co_ci_u32_e64 v10, s0, s9, v8, s0
	v_cmp_lt_i32_e64 s0, 5, v11
	v_or_b32_e32 v14, v20, v12
	v_cmp_eq_u32_e64 s1, 3, v11
	v_cvt_f64_f32_e32 v[11:12], v13
	v_lshl_or_b32 v20, v16, 12, v5
	v_and_or_b32 v3, 0x1ff, v4, v3
	v_lshrrev_b32_e32 v13, 8, v4
	s_or_b32 s0, s1, s0
	v_bfe_u32 v23, v4, 20, 11
	v_add_co_ci_u32_e64 v21, s0, 0, v1, s0
	v_cndmask_b32_e64 v20, v20, v14, s2
	v_cmp_ne_u32_e64 s0, 0, v3
	v_add_nc_u32_e32 v1, 0x800, v57
	v_cmp_gt_i32_e64 s2, 31, v18
	v_lshrrev_b32_e32 v4, 16, v4
	v_and_b32_e32 v22, 7, v20
	v_cndmask_b32_e64 v3, 0, 1, s0
	v_cmp_ne_u32_e64 s0, 0, v15
	v_lshrrev_b32_e32 v20, 2, v20
	v_cndmask_b32_e64 v21, 0x7c00, v21, s2
	v_cmp_eq_u32_e64 s1, 3, v22
	v_and_or_b32 v28, 0xffe, v13, v3
	v_cndmask_b32_e64 v15, 0, 1, s0
	v_cmp_lt_i32_e64 s0, 5, v22
	ds_read2_b32 v[13:14], v1 offset0:76 offset1:132
	v_mul_f64 v[11:12], v[11:12], s[4:5]
	v_sub_nc_u32_e32 v3, 0x3f1, v23
	v_or_b32_e32 v22, 0x1000, v28
	s_or_b32 s0, s1, s0
	v_lshl_or_b32 v15, v15, 9, 0x7c00
	v_add_co_ci_u32_e64 v20, s0, 0, v20, s0
	v_med3_i32 v3, v3, 0, 13
	v_cmp_eq_u32_e64 s0, 0x40f, v18
	v_lshrrev_b32_e32 v18, 16, v2
	global_store_dword v[9:10], v17, off
	v_lshrrev_b32_e32 v29, v3, v22
	v_cndmask_b32_e64 v15, v21, v15, s0
	v_cmp_gt_i32_e64 s0, 31, v16
	v_lshlrev_b32_e32 v2, v3, v29
	v_and_or_b32 v15, 0x8000, v18, v15
	v_cndmask_b32_e64 v20, 0x7c00, v20, s0
	v_cmp_ne_u32_e64 s0, 0, v5
	s_waitcnt lgkmcnt(0)
	v_lshrrev_b32_e32 v21, 16, v13
	v_and_or_b32 v11, 0x1ff, v12, v11
	v_bfe_u32 v30, v12, 20, 11
	v_cndmask_b32_e64 v3, 0, 1, s0
	v_cmp_ne_u32_e64 s0, v2, v22
	v_mul_f16_sdwa v5, v64, v21 dst_sel:DWORD dst_unused:UNUSED_PAD src0_sel:WORD_1 src1_sel:DWORD
	v_add_nc_u32_e32 v22, 0xfffffc10, v23
	v_lshl_or_b32 v23, v3, 9, 0x7c00
	v_cndmask_b32_e64 v2, 0, 1, s0
	v_cmp_ne_u32_e64 s0, 0, v11
	v_fmac_f16_e32 v5, v64, v13
	v_lshl_or_b32 v3, v22, 12, v28
	v_or_b32_e32 v2, v29, v2
	v_cndmask_b32_e64 v11, 0, 1, s0
	v_lshrrev_b32_e32 v29, 8, v12
	v_cmp_gt_i32_e64 s0, 1, v22
	v_cvt_f32_f16_e32 v5, v5
	v_lshrrev_b32_e32 v12, 16, v12
	v_and_or_b32 v11, 0xffe, v29, v11
	v_cndmask_b32_e64 v31, v3, v2, s0
	v_sub_nc_u32_e32 v29, 0x3f1, v30
	v_cmp_eq_u32_e64 s0, 0x40f, v16
	v_cvt_f64_f32_e32 v[2:3], v5
	v_and_b32_e32 v16, 7, v31
	v_cndmask_b32_e64 v5, v20, v23, s0
	v_or_b32_e32 v20, 0x1000, v11
	v_med3_i32 v23, v29, 0, 13
	v_cmp_lt_i32_e64 s0, 5, v16
	v_cmp_eq_u32_e64 s1, 3, v16
	v_and_or_b32 v18, 0x8000, v6, v5
	v_mul_f16_sdwa v5, v64, v13 dst_sel:DWORD dst_unused:UNUSED_PAD src0_sel:WORD_1 src1_sel:DWORD
	v_lshrrev_b32_e32 v13, v23, v20
	v_lshrrev_b32_e32 v6, 2, v31
	v_and_b32_e32 v29, 0xffff, v15
	s_or_b32 s0, s1, s0
	v_fma_f16 v5, v64, v21, -v5
	v_lshlrev_b32_e32 v15, v23, v13
	v_add_co_ci_u32_e64 v16, s0, 0, v6, s0
	v_add_nc_u32_e32 v23, 0x200, v57
	v_cvt_f32_f16_e32 v5, v5
	v_cmp_ne_u32_e64 s0, v15, v20
	v_mul_f64 v[2:3], v[2:3], s[4:5]
	v_add_nc_u32_e32 v20, 0xfffffc10, v30
	v_lshl_or_b32 v17, v18, 16, v29
	v_cvt_f64_f32_e32 v[5:6], v5
	v_cndmask_b32_e64 v15, 0, 1, s0
	v_cmp_ne_u32_e64 s0, 0, v28
	v_or_b32_e32 v13, v13, v15
	v_cndmask_b32_e64 v21, 0, 1, s0
	v_cmp_gt_i32_e64 s0, 31, v22
	v_lshl_or_b32 v15, v20, 12, v11
	v_lshl_or_b32 v21, v21, 9, 0x7c00
	v_cndmask_b32_e64 v16, 0x7c00, v16, s0
	v_cmp_gt_i32_e64 s0, 1, v20
	v_cndmask_b32_e64 v13, v15, v13, s0
	v_cmp_eq_u32_e64 s0, 0x40f, v22
	v_and_or_b32 v2, 0x1ff, v3, v2
	v_and_b32_e32 v7, 7, v13
	v_cndmask_b32_e64 v21, v16, v21, s0
	ds_read2_b32 v[15:16], v23 offset0:96 offset1:152
	v_cmp_ne_u32_e64 s2, 0, v2
	v_cmp_lt_i32_e64 s0, 5, v7
	v_and_or_b32 v8, 0x8000, v4, v21
	v_mul_f64 v[4:5], v[5:6], s[4:5]
	v_cmp_eq_u32_e64 s1, 3, v7
	v_lshrrev_b32_e32 v6, 2, v13
	v_cndmask_b32_e64 v2, 0, 1, s2
	v_lshrrev_b32_e32 v7, 8, v3
	v_bfe_u32 v13, v3, 20, 11
	s_or_b32 s0, s1, s0
	v_add_co_ci_u32_e64 v6, s0, 0, v6, s0
	v_and_or_b32 v2, 0xffe, v7, v2
	v_sub_nc_u32_e32 v7, 0x3f1, v13
	v_cmp_ne_u32_e64 s0, 0, v11
	s_waitcnt lgkmcnt(0)
	v_lshrrev_b32_e32 v18, 16, v15
	v_or_b32_e32 v19, 0x1000, v2
	v_cndmask_b32_e64 v11, 0, 1, s0
	v_med3_i32 v7, v7, 0, 13
	v_cmp_gt_i32_e64 s0, 31, v20
	v_mul_f16_sdwa v21, v63, v18 dst_sel:DWORD dst_unused:UNUSED_PAD src0_sel:WORD_1 src1_sel:DWORD
	v_lshl_or_b32 v11, v11, 9, 0x7c00
	v_lshrrev_b32_e32 v22, v7, v19
	v_cndmask_b32_e64 v6, 0x7c00, v6, s0
	v_and_or_b32 v4, 0x1ff, v5, v4
	v_cmp_eq_u32_e64 s0, 0x40f, v20
	v_fmac_f16_e32 v21, v63, v15
	v_lshlrev_b32_e32 v20, v7, v22
	v_bfe_u32 v23, v5, 20, 11
	v_mul_f16_sdwa v15, v63, v15 dst_sel:DWORD dst_unused:UNUSED_PAD src0_sel:WORD_1 src1_sel:DWORD
	v_cndmask_b32_e64 v11, v6, v11, s0
	v_cmp_ne_u32_e64 s0, 0, v4
	v_cvt_f32_f16_e32 v6, v21
	v_lshrrev_b32_e32 v21, 8, v5
	v_fma_f16 v15, v63, v18, -v15
	v_and_or_b32 v11, 0x8000, v12, v11
	v_cndmask_b32_e64 v4, 0, 1, s0
	v_cmp_ne_u32_e64 s0, v20, v19
	v_cvt_f64_f32_e32 v[6:7], v6
	v_add_nc_u32_e32 v20, 0xfffffc10, v13
	v_sub_nc_u32_e32 v13, 0x3f1, v23
	v_and_or_b32 v4, 0xffe, v21, v4
	v_cndmask_b32_e64 v19, 0, 1, s0
	v_and_b32_e32 v12, 0xffff, v8
	v_lshl_or_b32 v21, v20, 12, v2
	v_med3_i32 v13, v13, 0, 13
	v_cmp_gt_i32_e64 s0, 1, v20
	v_or_b32_e32 v19, v22, v19
	v_or_b32_e32 v22, 0x1000, v4
	v_lshl_or_b32 v28, v11, 16, v12
	v_cvt_f32_f16_e32 v15, v15
	v_add_nc_u32_e32 v18, 0xfffffc10, v23
	v_cndmask_b32_e64 v19, v21, v19, s0
	v_lshrrev_b32_e32 v21, v13, v22
	v_add_co_u32 v8, s0, v9, s6
	v_add_co_ci_u32_e64 v9, s0, s7, v10, s0
	v_lshlrev_b32_e32 v13, v13, v21
	v_and_b32_e32 v12, 7, v19
	v_mul_f64 v[6:7], v[6:7], s[4:5]
	v_add_co_u32 v10, s0, v8, s8
	v_cmp_ne_u32_e64 s1, v13, v22
	v_add_co_ci_u32_e64 v11, s0, s9, v9, s0
	v_cmp_lt_i32_e64 s0, 5, v12
	v_lshrrev_b32_e32 v19, 2, v19
	v_cndmask_b32_e64 v13, 0, 1, s1
	v_cmp_eq_u32_e64 s1, 3, v12
	v_lshl_or_b32 v22, v18, 12, v4
	global_store_dword v[8:9], v17, off
	global_store_dword v[10:11], v28, off
	v_or_b32_e32 v21, v21, v13
	s_or_b32 s0, s1, s0
	v_cvt_f64_f32_e32 v[12:13], v15
	v_add_co_ci_u32_e64 v15, s0, 0, v19, s0
	v_cmp_ne_u32_e64 s0, 0, v2
	v_and_or_b32 v6, 0x1ff, v7, v6
	v_cndmask_b32_e64 v2, 0, 1, s0
	v_cmp_gt_i32_e64 s0, 1, v18
	v_bfe_u32 v23, v7, 20, 11
	v_lshl_or_b32 v2, v2, 9, 0x7c00
	v_cndmask_b32_e64 v19, v22, v21, s0
	v_cmp_gt_i32_e64 s0, 31, v20
	v_lshrrev_b32_e32 v22, 8, v7
	v_and_b32_e32 v21, 7, v19
	v_cndmask_b32_e64 v15, 0x7c00, v15, s0
	v_cmp_ne_u32_e64 s0, 0, v6
	v_cmp_eq_u32_e64 s1, 3, v21
	v_cndmask_b32_e64 v6, 0, 1, s0
	v_cmp_eq_u32_e64 s0, 0x40f, v20
	v_lshrrev_b32_e32 v20, 16, v3
	v_and_or_b32 v6, 0xffe, v22, v6
	v_cndmask_b32_e64 v15, v15, v2, s0
	v_cmp_lt_i32_e64 s0, 5, v21
	v_mul_f64 v[2:3], v[12:13], s[4:5]
	v_lshrrev_b32_e32 v13, 2, v19
	v_sub_nc_u32_e32 v22, 0x3f1, v23
	v_or_b32_e32 v19, 0x1000, v6
	s_or_b32 s0, s1, s0
	v_lshrrev_b32_e32 v12, 16, v14
	v_add_co_ci_u32_e64 v13, s0, 0, v13, s0
	v_med3_i32 v21, v22, 0, 13
	v_cmp_ne_u32_e64 s0, 0, v4
	v_mul_f16_sdwa v22, v62, v12 dst_sel:DWORD dst_unused:UNUSED_PAD src0_sel:WORD_1 src1_sel:DWORD
	v_and_or_b32 v15, 0x8000, v20, v15
	v_lshrrev_b32_e32 v29, v21, v19
	v_cndmask_b32_e64 v4, 0, 1, s0
	v_cmp_gt_i32_e64 s0, 31, v18
	v_fmac_f16_e32 v22, v62, v14
	v_and_b32_e32 v15, 0xffff, v15
	v_lshlrev_b32_e32 v20, v21, v29
	v_lshl_or_b32 v4, v4, 9, 0x7c00
	v_cndmask_b32_e64 v13, 0x7c00, v13, s0
	v_cmp_eq_u32_e64 s0, 0x40f, v18
	v_and_or_b32 v2, 0x1ff, v3, v2
	v_cvt_f32_f16_e32 v21, v22
	v_lshrrev_b32_e32 v18, 16, v5
	v_bfe_u32 v22, v3, 20, 11
	v_cndmask_b32_e64 v13, v13, v4, s0
	v_cmp_ne_u32_e64 s0, v20, v19
	v_cvt_f64_f32_e32 v[4:5], v21
	v_add_nc_u32_e32 v20, 0xfffffc10, v23
	v_lshrrev_b32_e32 v21, 8, v3
	v_and_or_b32 v13, 0x8000, v18, v13
	v_cndmask_b32_e64 v19, 0, 1, s0
	v_cmp_ne_u32_e64 s0, 0, v2
	v_lshl_or_b32 v13, v13, 16, v15
	v_or_b32_e32 v18, v29, v19
	v_cndmask_b32_e64 v2, 0, 1, s0
	v_lshl_or_b32 v19, v20, 12, v6
	v_cmp_gt_i32_e64 s0, 1, v20
	v_and_or_b32 v2, 0xffe, v21, v2
	v_sub_nc_u32_e32 v21, 0x3f1, v22
	v_cndmask_b32_e64 v18, v19, v18, s0
	v_add_co_u32 v8, s0, v10, s6
	v_or_b32_e32 v19, 0x1000, v2
	v_med3_i32 v21, v21, 0, 13
	v_and_b32_e32 v15, 7, v18
	v_mul_f64 v[4:5], v[4:5], s[4:5]
	v_add_co_ci_u32_e64 v9, s0, s7, v11, s0
	v_lshrrev_b32_e32 v17, v21, v19
	v_cmp_lt_i32_e64 s0, 5, v15
	v_cmp_eq_u32_e64 s1, 3, v15
	v_mul_f16_sdwa v11, v62, v14 dst_sel:DWORD dst_unused:UNUSED_PAD src0_sel:WORD_1 src1_sel:DWORD
	v_lshrrev_b32_e32 v14, 2, v18
	v_lshlrev_b32_e32 v10, v21, v17
	global_store_dword v[8:9], v13, off
	s_or_b32 s0, s1, s0
	v_fma_f16 v11, v62, v12, -v11
	v_add_co_ci_u32_e64 v14, s0, 0, v14, s0
	v_cmp_ne_u32_e64 s2, v10, v19
	v_add_nc_u32_e32 v12, 0xfffffc10, v22
	v_cmp_ne_u32_e64 s0, 0, v6
	v_cvt_f32_f16_e32 v11, v11
	v_cndmask_b32_e64 v10, 0, 1, s2
	v_cndmask_b32_e64 v6, 0, 1, s0
	v_cmp_gt_i32_e64 s0, 1, v12
	v_and_or_b32 v4, 0x1ff, v5, v4
	v_or_b32_e32 v15, v17, v10
	v_lshl_or_b32 v17, v12, 12, v2
	v_cvt_f64_f32_e32 v[10:11], v11
	v_lshl_or_b32 v6, v6, 9, 0x7c00
	v_bfe_u32 v19, v5, 20, 11
	v_lshrrev_b32_e32 v18, 8, v5
	v_cndmask_b32_e64 v15, v17, v15, s0
	v_cmp_gt_i32_e64 s0, 31, v20
	v_lshrrev_b32_e32 v5, 16, v5
	v_and_b32_e32 v17, 7, v15
	v_cndmask_b32_e64 v14, 0x7c00, v14, s0
	v_cmp_ne_u32_e64 s0, 0, v4
	v_lshrrev_b32_e32 v15, 2, v15
	v_cmp_eq_u32_e64 s1, 3, v17
	v_cndmask_b32_e64 v4, 0, 1, s0
	v_cmp_eq_u32_e64 s0, 0x40f, v20
	v_lshrrev_b32_e32 v20, 16, v7
	v_and_or_b32 v4, 0xffe, v18, v4
	v_cndmask_b32_e64 v14, v14, v6, s0
	v_sub_nc_u32_e32 v6, 0x3f1, v19
	v_cmp_lt_i32_e64 s0, 5, v17
	v_or_b32_e32 v17, 0x1000, v4
	v_and_or_b32 v14, 0x8000, v20, v14
	v_med3_i32 v18, v6, 0, 13
	v_mul_f64 v[6:7], v[10:11], s[4:5]
	s_or_b32 s0, s1, s0
	v_lshrrev_b32_e32 v10, 16, v16
	v_add_co_ci_u32_e64 v11, s0, 0, v15, s0
	v_cmp_ne_u32_e64 s0, 0, v2
	v_lshrrev_b32_e32 v15, v18, v17
	v_mul_f16_sdwa v21, v61, v10 dst_sel:DWORD dst_unused:UNUSED_PAD src0_sel:WORD_1 src1_sel:DWORD
	v_and_b32_e32 v14, 0xffff, v14
	v_cndmask_b32_e64 v2, 0, 1, s0
	v_cmp_gt_i32_e64 s0, 31, v12
	v_lshlrev_b32_e32 v18, v18, v15
	v_fmac_f16_e32 v21, v61, v16
	v_mul_f16_sdwa v16, v61, v16 dst_sel:DWORD dst_unused:UNUSED_PAD src0_sel:WORD_1 src1_sel:DWORD
	v_lshl_or_b32 v2, v2, 9, 0x7c00
	v_cndmask_b32_e64 v11, 0x7c00, v11, s0
	v_cmp_eq_u32_e64 s0, 0x40f, v12
	v_lshrrev_b32_e32 v12, 16, v3
	v_fma_f16 v10, v61, v10, -v16
	v_cndmask_b32_e64 v11, v11, v2, s0
	v_cmp_ne_u32_e64 s0, v18, v17
	v_and_or_b32 v6, 0x1ff, v7, v6
	v_cvt_f32_f16_e32 v2, v21
	v_add_nc_u32_e32 v18, 0xfffffc10, v19
	v_and_or_b32 v11, 0x8000, v12, v11
	v_cndmask_b32_e64 v17, 0, 1, s0
	v_cmp_ne_u32_e64 s0, 0, v6
	v_cvt_f64_f32_e32 v[2:3], v2
	v_bfe_u32 v19, v7, 20, 11
	v_lshl_or_b32 v11, v11, 16, v14
	v_or_b32_e32 v12, v15, v17
	v_lshl_or_b32 v15, v18, 12, v4
	v_cndmask_b32_e64 v6, 0, 1, s0
	v_lshrrev_b32_e32 v17, 8, v7
	v_cmp_gt_i32_e64 s0, 1, v18
	v_add_nc_u32_e32 v16, 0xfffffc10, v19
	v_lshrrev_b32_e32 v7, 16, v7
	v_and_or_b32 v6, 0xffe, v17, v6
	v_cndmask_b32_e64 v12, v15, v12, s0
	v_sub_nc_u32_e32 v15, 0x3f1, v19
	v_add_co_u32 v8, s0, v8, s8
	v_or_b32_e32 v14, 0x1000, v6
	v_and_b32_e32 v13, 7, v12
	v_med3_i32 v15, v15, 0, 13
	v_add_co_ci_u32_e64 v9, s0, s9, v9, s0
	v_cmp_lt_i32_e64 s0, 5, v13
	v_lshrrev_b32_e32 v17, v15, v14
	v_cmp_eq_u32_e64 s1, 3, v13
	v_mul_f64 v[2:3], v[2:3], s[4:5]
	global_store_dword v[8:9], v11, off
	v_lshrrev_b32_e32 v11, 2, v12
	v_lshlrev_b32_e32 v12, v15, v17
	s_or_b32 s0, s1, s0
	v_add_co_ci_u32_e64 v15, s0, 0, v11, s0
	v_cmp_ne_u32_e64 s0, v12, v14
	v_cvt_f32_f16_e32 v12, v10
	ds_read2_b32 v[10:11], v1 offset0:188 offset1:244
	v_cndmask_b32_e64 v14, 0, 1, s0
	v_cmp_ne_u32_e64 s0, 0, v4
	v_cvt_f64_f32_e32 v[12:13], v12
	v_or_b32_e32 v1, v17, v14
	v_cndmask_b32_e64 v4, 0, 1, s0
	v_cmp_gt_i32_e64 s0, 31, v18
	v_lshl_or_b32 v14, v16, 12, v6
	v_and_or_b32 v2, 0x1ff, v3, v2
	v_bfe_u32 v17, v3, 20, 11
	v_lshl_or_b32 v4, v4, 9, 0x7c00
	v_cndmask_b32_e64 v15, 0x7c00, v15, s0
	v_cmp_gt_i32_e64 s0, 1, v16
	v_sub_nc_u32_e32 v19, 0x3f1, v17
	s_waitcnt lgkmcnt(0)
	v_lshrrev_b32_e32 v20, 16, v10
	v_cndmask_b32_e64 v14, v14, v1, s0
	v_cmp_ne_u32_e64 s0, 0, v2
	v_lshrrev_b32_e32 v2, 8, v3
	v_lshrrev_b32_e32 v3, 16, v3
	v_cndmask_b32_e64 v1, 0, 1, s0
	v_cmp_eq_u32_e64 s0, 0x40f, v18
	v_and_or_b32 v18, 0xffe, v2, v1
	v_cndmask_b32_e64 v4, v15, v4, s0
	v_and_b32_e32 v15, 7, v14
	v_mul_f64 v[1:2], v[12:13], s[4:5]
	v_med3_i32 v12, v19, 0, 13
	v_or_b32_e32 v21, 0x1000, v18
	v_mul_f16_sdwa v13, v60, v20 dst_sel:DWORD dst_unused:UNUSED_PAD src0_sel:WORD_1 src1_sel:DWORD
	v_cmp_lt_i32_e64 s0, 5, v15
	v_cmp_eq_u32_e64 s1, 3, v15
	v_and_or_b32 v15, 0x8000, v5, v4
	v_lshrrev_b32_e32 v4, 2, v14
	v_lshrrev_b32_e32 v14, v12, v21
	v_fmac_f16_e32 v13, v60, v10
	s_or_b32 s0, s1, s0
	v_add_co_ci_u32_e64 v4, s0, 0, v4, s0
	v_cmp_ne_u32_e64 s0, 0, v6
	v_lshlrev_b32_e32 v12, v12, v14
	v_cvt_f32_f16_e32 v6, v13
	v_cndmask_b32_e64 v5, 0, 1, s0
	v_cmp_gt_i32_e64 s0, 31, v16
	v_and_or_b32 v1, 0x1ff, v2, v1
	v_lshl_or_b32 v19, v5, 9, 0x7c00
	v_cndmask_b32_e64 v13, 0x7c00, v4, s0
	v_cmp_ne_u32_e64 s0, v12, v21
	v_cvt_f64_f32_e32 v[4:5], v6
	v_add_nc_u32_e32 v12, 0xfffffc10, v17
	v_bfe_u32 v17, v2, 20, 11
	v_cndmask_b32_e64 v6, 0, 1, s0
	v_cmp_eq_u32_e64 s0, 0x40f, v16
	v_lshrrev_b32_e32 v16, 8, v2
	v_or_b32_e32 v6, v14, v6
	v_cndmask_b32_e64 v13, v13, v19, s0
	v_cmp_ne_u32_e64 s0, 0, v1
	v_lshl_or_b32 v14, v12, 12, v18
	v_cndmask_b32_e64 v1, 0, 1, s0
	v_cmp_gt_i32_e64 s0, 1, v12
	v_and_or_b32 v1, 0xffe, v16, v1
	v_cndmask_b32_e64 v14, v14, v6, s0
	v_and_or_b32 v6, 0x8000, v7, v13
	v_sub_nc_u32_e32 v7, 0x3f1, v17
	v_mul_f64 v[4:5], v[4:5], s[4:5]
	v_or_b32_e32 v16, 0x1000, v1
	v_and_b32_e32 v13, 0xffff, v15
	v_and_b32_e32 v15, 7, v14
	v_med3_i32 v19, v7, 0, 13
	v_mul_f16_sdwa v7, v60, v10 dst_sel:DWORD dst_unused:UNUSED_PAD src0_sel:WORD_1 src1_sel:DWORD
	v_lshl_or_b32 v21, v6, 16, v13
	v_cmp_lt_i32_e64 s0, 5, v15
	v_lshrrev_b32_e32 v10, v19, v16
	v_cmp_eq_u32_e64 s1, 3, v15
	v_add_co_u32 v6, s2, v8, s6
	v_lshrrev_b32_e32 v8, 2, v14
	v_fma_f16 v13, v60, v20, -v7
	v_add_co_ci_u32_e64 v7, s2, s7, v9, s2
	v_lshlrev_b32_e32 v9, v19, v10
	s_or_b32 s0, s1, s0
	v_cvt_f32_f16_e32 v13, v13
	v_add_co_ci_u32_e64 v14, s0, 0, v8, s0
	v_cmp_ne_u32_e64 s0, v9, v16
	v_and_or_b32 v4, 0x1ff, v5, v4
	v_cvt_f64_f32_e32 v[8:9], v13
	v_add_nc_u32_e32 v13, 0xfffffc10, v17
	v_lshrrev_b32_e32 v16, 8, v5
	v_cndmask_b32_e64 v15, 0, 1, s0
	v_cmp_gt_i32_e64 s0, 31, v12
	v_bfe_u32 v17, v5, 20, 11
	v_lshrrev_b32_e32 v5, 16, v5
	v_or_b32_e32 v10, v10, v15
	v_cndmask_b32_e64 v14, 0x7c00, v14, s0
	v_cmp_ne_u32_e64 s0, 0, v4
	v_lshl_or_b32 v15, v13, 12, v1
	v_cndmask_b32_e64 v4, 0, 1, s0
	v_cmp_ne_u32_e64 s0, 0, v18
	v_cndmask_b32_e64 v18, 0, 1, s0
	v_cmp_gt_i32_e64 s0, 1, v13
	v_mul_f64 v[8:9], v[8:9], s[4:5]
	v_cndmask_b32_e64 v10, v15, v10, s0
	v_and_or_b32 v15, 0xffe, v16, v4
	v_sub_nc_u32_e32 v4, 0x3f1, v17
	v_lshl_or_b32 v16, v18, 9, 0x7c00
	v_cmp_eq_u32_e64 s0, 0x40f, v12
	v_and_b32_e32 v19, 7, v10
	v_or_b32_e32 v20, 0x1000, v15
	v_med3_i32 v4, v4, 0, 13
	v_lshrrev_b32_e32 v18, 16, v0
	v_cndmask_b32_e64 v12, v14, v16, s0
	v_cmp_lt_i32_e64 s0, 5, v19
	v_cmp_eq_u32_e64 s1, 3, v19
	v_lshrrev_b32_e32 v14, v4, v20
	v_mul_f16_sdwa v22, v59, v18 dst_sel:DWORD dst_unused:UNUSED_PAD src0_sel:WORD_1 src1_sel:DWORD
	v_and_or_b32 v12, 0x8000, v3, v12
	v_lshrrev_b32_e32 v3, 2, v10
	s_or_b32 s0, s1, s0
	v_lshlrev_b32_e32 v4, v4, v14
	v_fmac_f16_e32 v22, v59, v0
	v_add_nc_u32_e32 v17, 0xfffffc10, v17
	v_add_co_ci_u32_e64 v16, s0, 0, v3, s0
	v_cmp_ne_u32_e64 s0, v4, v20
	v_cvt_f32_f16_e32 v10, v22
	v_and_or_b32 v8, 0x1ff, v9, v8
	v_and_b32_e32 v12, 0xffff, v12
	v_mul_f16_sdwa v0, v59, v0 dst_sel:DWORD dst_unused:UNUSED_PAD src0_sel:WORD_1 src1_sel:DWORD
	v_cndmask_b32_e64 v19, 0, 1, s0
	v_cmp_ne_u32_e64 s0, 0, v1
	v_cvt_f64_f32_e32 v[3:4], v10
	v_fma_f16 v0, v59, v18, -v0
	v_or_b32_e32 v10, v14, v19
	v_cndmask_b32_e64 v1, 0, 1, s0
	v_cmp_gt_i32_e64 s0, 31, v13
	v_lshl_or_b32 v14, v17, 12, v15
	v_bfe_u32 v19, v9, 20, 11
	v_cvt_f32_f16_e32 v0, v0
	v_lshl_or_b32 v1, v1, 9, 0x7c00
	v_cndmask_b32_e64 v16, 0x7c00, v16, s0
	v_cmp_gt_i32_e64 s0, 1, v17
	v_cndmask_b32_e64 v10, v14, v10, s0
	v_cmp_ne_u32_e64 s0, 0, v8
	v_lshrrev_b32_e32 v14, 8, v9
	v_and_b32_e32 v20, 7, v10
	v_cndmask_b32_e64 v8, 0, 1, s0
	v_cmp_eq_u32_e64 s0, 0x40f, v13
	v_lshrrev_b32_e32 v10, 2, v10
	v_cmp_eq_u32_e64 s1, 3, v20
	v_and_or_b32 v8, 0xffe, v14, v8
	v_sub_nc_u32_e32 v14, 0x3f1, v19
	v_cndmask_b32_e64 v13, v16, v1, s0
	v_cmp_lt_i32_e64 s0, 5, v20
	v_lshrrev_b32_e32 v16, 16, v2
	v_mul_f64 v[1:2], v[3:4], s[4:5]
	v_or_b32_e32 v3, 0x1000, v8
	v_med3_i32 v4, v14, 0, 13
	s_or_b32 s0, s1, s0
	v_and_or_b32 v13, 0x8000, v16, v13
	v_add_co_ci_u32_e64 v10, s0, 0, v10, s0
	v_lshrrev_b32_e32 v14, v4, v3
	v_cmp_ne_u32_e64 s0, 0, v15
	v_lshl_or_b32 v16, v13, 16, v12
	v_lshlrev_b32_e32 v4, v4, v14
	v_cndmask_b32_e64 v15, 0, 1, s0
	v_cmp_gt_i32_e64 s0, 31, v17
	v_lshl_or_b32 v12, v15, 9, 0x7c00
	v_cndmask_b32_e64 v10, 0x7c00, v10, s0
	v_cmp_ne_u32_e64 s0, v4, v3
	v_add_nc_u32_e32 v15, 0xfffffc10, v19
	v_and_or_b32 v1, 0x1ff, v2, v1
	v_lshrrev_b32_e32 v13, 8, v2
	v_lshrrev_b32_e32 v19, 16, v11
	v_cndmask_b32_e64 v3, 0, 1, s0
	v_cmp_eq_u32_e64 s0, 0x40f, v17
	v_lshl_or_b32 v4, v15, 12, v8
	v_mul_f16_sdwa v22, v58, v19 dst_sel:DWORD dst_unused:UNUSED_PAD src0_sel:WORD_1 src1_sel:DWORD
	v_or_b32_e32 v3, v14, v3
	v_cndmask_b32_e64 v10, v10, v12, s0
	v_cmp_ne_u32_e64 s0, 0, v1
	v_bfe_u32 v14, v2, 20, 11
	v_cvt_f64_f32_e32 v[0:1], v0
	v_fmac_f16_e32 v22, v58, v11
	v_and_or_b32 v5, 0x8000, v5, v10
	v_cndmask_b32_e64 v12, 0, 1, s0
	v_cmp_gt_i32_e64 s0, 1, v15
	v_mul_f16_sdwa v11, v58, v11 dst_sel:DWORD dst_unused:UNUSED_PAD src0_sel:WORD_1 src1_sel:DWORD
	v_lshrrev_b32_e32 v2, 16, v2
	v_and_b32_e32 v5, 0xffff, v5
	v_and_or_b32 v18, 0xffe, v13, v12
	v_cndmask_b32_e64 v17, v4, v3, s0
	v_sub_nc_u32_e32 v3, 0x3f1, v14
	v_add_nc_u32_e32 v14, 0xfffffc10, v14
	v_fma_f16 v11, v58, v19, -v11
	v_or_b32_e32 v20, 0x1000, v18
	v_and_b32_e32 v12, 7, v17
	v_med3_i32 v13, v3, 0, 13
	v_add_co_u32 v3, s0, v6, s8
	v_add_co_ci_u32_e64 v4, s0, s9, v7, s0
	v_lshrrev_b32_e32 v10, v13, v20
	v_cmp_lt_i32_e64 s0, 5, v12
	v_cmp_eq_u32_e64 s1, 3, v12
	v_lshrrev_b32_e32 v12, 2, v17
	v_mul_f64 v[0:1], v[0:1], s[4:5]
	v_lshlrev_b32_e32 v17, v13, v10
	v_cvt_f32_f16_e32 v13, v22
	s_or_b32 s0, s1, s0
	v_add_co_ci_u32_e64 v22, s0, 0, v12, s0
	v_cmp_ne_u32_e64 s0, v17, v20
	v_cvt_f64_f32_e32 v[12:13], v13
	v_cndmask_b32_e64 v17, 0, 1, s0
	v_cmp_ne_u32_e64 s0, 0, v8
	v_or_b32_e32 v10, v10, v17
	v_cndmask_b32_e64 v8, 0, 1, s0
	v_cmp_gt_i32_e64 s0, 31, v15
	v_lshl_or_b32 v17, v14, 12, v18
	v_and_or_b32 v0, 0x1ff, v1, v0
	v_lshl_or_b32 v8, v8, 9, 0x7c00
	v_cndmask_b32_e64 v19, 0x7c00, v22, s0
	v_cmp_gt_i32_e64 s0, 1, v14
	v_cndmask_b32_e64 v17, v17, v10, s0
	v_cvt_f32_f16_e32 v10, v11
	v_cmp_eq_u32_e64 s0, 0x40f, v15
	v_and_b32_e32 v20, 7, v17
	v_cndmask_b32_e64 v15, v19, v8, s0
	v_lshrrev_b32_e32 v19, 16, v9
	v_cvt_f64_f32_e32 v[8:9], v10
	v_mul_f64 v[10:11], v[12:13], s[4:5]
	v_cmp_ne_u32_e64 s0, 0, v0
	v_lshrrev_b32_e32 v12, 8, v1
	v_and_or_b32 v15, 0x8000, v19, v15
	v_bfe_u32 v13, v1, 20, 11
	v_cmp_eq_u32_e64 s1, 3, v20
	v_cndmask_b32_e64 v0, 0, 1, s0
	v_cmp_lt_i32_e64 s0, 5, v20
	v_lshl_or_b32 v5, v15, 16, v5
	v_lshrrev_b32_e32 v15, 2, v17
	v_lshrrev_b32_e32 v1, 16, v1
	v_and_or_b32 v0, 0xffe, v12, v0
	v_sub_nc_u32_e32 v12, 0x3f1, v13
	s_or_b32 s0, s1, s0
	v_add_nc_u32_e32 v13, 0xfffffc10, v13
	v_add_co_ci_u32_e64 v15, s0, 0, v15, s0
	v_or_b32_e32 v17, 0x1000, v0
	v_med3_i32 v12, v12, 0, 13
	v_cmp_ne_u32_e64 s0, 0, v18
	v_mul_f64 v[8:9], v[8:9], s[4:5]
	v_and_or_b32 v10, 0x1ff, v11, v10
	v_lshrrev_b32_e32 v19, v12, v17
	v_cndmask_b32_e64 v18, 0, 1, s0
	v_cmp_gt_i32_e64 s0, 31, v14
	v_lshrrev_b32_e32 v20, 8, v11
	v_bfe_u32 v22, v11, 20, 11
	v_lshlrev_b32_e32 v12, v12, v19
	v_lshl_or_b32 v18, v18, 9, 0x7c00
	v_cndmask_b32_e64 v15, 0x7c00, v15, s0
	v_cmp_ne_u32_e64 s0, 0, v10
	v_lshrrev_b32_e32 v11, 16, v11
	v_cndmask_b32_e64 v10, 0, 1, s0
	v_cmp_ne_u32_e64 s0, v12, v17
	v_sub_nc_u32_e32 v17, 0x3f1, v22
	v_and_or_b32 v10, 0xffe, v20, v10
	v_cndmask_b32_e64 v12, 0, 1, s0
	v_cmp_eq_u32_e64 s0, 0x40f, v14
	v_med3_i32 v17, v17, 0, 13
	v_and_or_b32 v8, 0x1ff, v9, v8
	v_bfe_u32 v20, v9, 20, 11
	v_or_b32_e32 v12, v19, v12
	v_cndmask_b32_e64 v14, v15, v18, s0
	v_lshl_or_b32 v15, v13, 12, v0
	v_or_b32_e32 v18, 0x1000, v10
	v_cmp_gt_i32_e64 s0, 1, v13
	v_lshrrev_b32_e32 v19, 8, v9
	v_and_or_b32 v2, 0x8000, v2, v14
	v_sub_nc_u32_e32 v14, 0x3f1, v20
	v_cndmask_b32_e64 v12, v15, v12, s0
	v_lshrrev_b32_e32 v15, v17, v18
	v_cmp_ne_u32_e64 s0, 0, v8
	v_med3_i32 v14, v14, 0, 13
	v_and_b32_e32 v23, 7, v12
	v_lshlrev_b32_e32 v17, v17, v15
	v_cndmask_b32_e64 v8, 0, 1, s0
	v_lshrrev_b32_e32 v12, 2, v12
	v_cmp_lt_i32_e64 s0, 5, v23
	v_cmp_ne_u32_e64 s1, v17, v18
	v_and_or_b32 v8, 0xffe, v19, v8
	v_add_nc_u32_e32 v19, 0xfffffc10, v22
	v_cndmask_b32_e64 v17, 0, 1, s1
	v_cmp_eq_u32_e64 s1, 3, v23
	v_or_b32_e32 v18, 0x1000, v8
	v_lshl_or_b32 v22, v19, 12, v10
	v_or_b32_e32 v15, v15, v17
	s_or_b32 s0, s1, s0
	v_lshrrev_b32_e32 v17, v14, v18
	v_add_co_ci_u32_e64 v12, s0, 0, v12, s0
	v_cmp_gt_i32_e64 s0, 1, v19
	v_lshlrev_b32_e32 v14, v14, v17
	v_cndmask_b32_e64 v15, v22, v15, s0
	v_cmp_ne_u32_e64 s0, 0, v0
	v_cndmask_b32_e64 v0, 0, 1, s0
	v_cmp_ne_u32_e64 s0, v14, v18
	v_add_nc_u32_e32 v18, 0xfffffc10, v20
	v_and_b32_e32 v20, 7, v15
	v_lshl_or_b32 v0, v0, 9, 0x7c00
	v_cndmask_b32_e64 v14, 0, 1, s0
	v_cmp_gt_i32_e64 s0, 31, v13
	v_cmp_gt_i32_e64 s2, 1, v18
	v_cmp_eq_u32_e64 s1, 3, v20
	v_or_b32_e32 v14, v17, v14
	v_lshl_or_b32 v17, v18, 12, v8
	v_cndmask_b32_e64 v12, 0x7c00, v12, s0
	v_cmp_lt_i32_e64 s0, 5, v20
	v_cndmask_b32_e64 v14, v17, v14, s2
	v_cmp_eq_u32_e64 s2, 0x40f, v13
	s_or_b32 s0, s1, s0
	v_and_b32_e32 v13, 7, v14
	v_cndmask_b32_e64 v0, v12, v0, s2
	v_lshrrev_b32_e32 v12, 2, v15
	v_cmp_gt_i32_e64 s2, 31, v19
	v_cmp_eq_u32_e64 s1, 3, v13
	v_and_or_b32 v0, 0x8000, v1, v0
	v_add_co_ci_u32_e64 v12, s0, 0, v12, s0
	v_cmp_ne_u32_e64 s0, 0, v10
	v_and_b32_e32 v1, 0xffff, v2
	v_cndmask_b32_e64 v12, 0x7c00, v12, s2
	v_cndmask_b32_e64 v10, 0, 1, s0
	v_cmp_lt_i32_e64 s0, 5, v13
	v_lshrrev_b32_e32 v13, 2, v14
	v_lshl_or_b32 v10, v10, 9, 0x7c00
	s_or_b32 s0, s1, s0
	v_add_co_ci_u32_e64 v13, s0, 0, v13, s0
	v_cmp_ne_u32_e64 s0, 0, v8
	v_cndmask_b32_e64 v8, 0, 1, s0
	v_cmp_eq_u32_e64 s0, 0x40f, v19
	v_lshl_or_b32 v8, v8, 9, 0x7c00
	v_cndmask_b32_e64 v10, v12, v10, s0
	v_cmp_gt_i32_e64 s0, 31, v18
	v_and_or_b32 v2, 0x8000, v11, v10
	v_cndmask_b32_e64 v12, 0x7c00, v13, s0
	v_cmp_eq_u32_e64 s0, 0x40f, v18
	v_lshrrev_b32_e32 v11, 16, v9
	v_cndmask_b32_e64 v10, v12, v8, s0
	v_add_co_u32 v8, s0, v3, s6
	v_add_co_ci_u32_e64 v9, s0, s7, v4, s0
	v_lshl_or_b32 v12, v0, 16, v1
	v_and_or_b32 v0, 0x8000, v11, v10
	v_and_b32_e32 v1, 0xffff, v2
	v_add_co_u32 v10, s0, v8, s8
	v_add_co_ci_u32_e64 v11, s0, s9, v9, s0
	v_lshl_or_b32 v2, v0, 16, v1
	v_add_co_u32 v0, s0, v10, s6
	v_add_co_ci_u32_e64 v1, s0, s7, v11, s0
	global_store_dword v[6:7], v21, off
	global_store_dword v[3:4], v16, off
	;; [unrolled: 1-line block ×5, first 2 shown]
	s_and_b32 exec_lo, exec_lo, vcc_lo
	s_cbranch_execz .LBB0_39
; %bb.38:
	global_load_dword v2, v[26:27], off offset:1568
	ds_read_b32 v3, v57 offset:1568
	ds_read_b32 v6, v57 offset:3248
	s_waitcnt lgkmcnt(1)
	v_lshrrev_b32_e32 v4, 16, v3
	s_waitcnt vmcnt(0)
	v_mul_f16_sdwa v5, v4, v2 dst_sel:DWORD dst_unused:UNUSED_PAD src0_sel:DWORD src1_sel:WORD_1
	v_mul_f16_sdwa v7, v3, v2 dst_sel:DWORD dst_unused:UNUSED_PAD src0_sel:DWORD src1_sel:WORD_1
	v_fmac_f16_e32 v5, v3, v2
	v_fma_f16 v2, v2, v4, -v7
	v_cvt_f32_f16_e32 v3, v5
	v_cvt_f32_f16_e32 v4, v2
	v_cvt_f64_f32_e32 v[2:3], v3
	v_cvt_f64_f32_e32 v[4:5], v4
	v_mul_f64 v[2:3], v[2:3], s[4:5]
	v_mul_f64 v[4:5], v[4:5], s[4:5]
	v_and_or_b32 v2, 0x1ff, v3, v2
	v_and_or_b32 v4, 0x1ff, v5, v4
	v_lshrrev_b32_e32 v7, 8, v3
	v_bfe_u32 v8, v3, 20, 11
	v_lshrrev_b32_e32 v9, 8, v5
	v_cmp_ne_u32_e32 vcc_lo, 0, v2
	v_bfe_u32 v10, v5, 20, 11
	v_lshrrev_b32_e32 v3, 16, v3
	v_sub_nc_u32_e32 v11, 0x3f1, v8
	v_add_nc_u32_e32 v8, 0xfffffc10, v8
	v_cndmask_b32_e64 v2, 0, 1, vcc_lo
	v_cmp_ne_u32_e32 vcc_lo, 0, v4
	v_lshrrev_b32_e32 v5, 16, v5
	v_and_or_b32 v2, 0xffe, v7, v2
	v_cndmask_b32_e64 v4, 0, 1, vcc_lo
	v_sub_nc_u32_e32 v7, 0x3f1, v10
	v_add_nc_u32_e32 v10, 0xfffffc10, v10
	v_and_or_b32 v4, 0xffe, v9, v4
	v_med3_i32 v9, v11, 0, 13
	v_or_b32_e32 v11, 0x1000, v2
	v_med3_i32 v7, v7, 0, 13
	v_or_b32_e32 v12, 0x1000, v4
	v_lshrrev_b32_e32 v13, v9, v11
	v_lshrrev_b32_e32 v14, v7, v12
	v_lshlrev_b32_e32 v9, v9, v13
	v_lshlrev_b32_e32 v7, v7, v14
	v_cmp_ne_u32_e32 vcc_lo, v9, v11
	v_lshl_or_b32 v11, v8, 12, v2
	v_cndmask_b32_e64 v9, 0, 1, vcc_lo
	v_cmp_ne_u32_e32 vcc_lo, v7, v12
	v_lshl_or_b32 v12, v10, 12, v4
	v_or_b32_e32 v9, v13, v9
	v_cndmask_b32_e64 v7, 0, 1, vcc_lo
	v_cmp_gt_i32_e32 vcc_lo, 1, v8
	v_or_b32_e32 v7, v14, v7
	v_cndmask_b32_e32 v9, v11, v9, vcc_lo
	v_cmp_gt_i32_e32 vcc_lo, 1, v10
	v_and_b32_e32 v11, 7, v9
	v_cndmask_b32_e32 v7, v12, v7, vcc_lo
	v_cmp_ne_u32_e32 vcc_lo, 0, v2
	v_lshrrev_b32_e32 v9, 2, v9
	v_cmp_eq_u32_e64 s0, 3, v11
	v_and_b32_e32 v12, 7, v7
	v_cndmask_b32_e64 v2, 0, 1, vcc_lo
	v_cmp_ne_u32_e32 vcc_lo, 0, v4
	v_lshrrev_b32_e32 v7, 2, v7
	v_cmp_lt_i32_e64 s1, 5, v12
	v_cmp_eq_u32_e64 s2, 3, v12
	v_cndmask_b32_e64 v4, 0, 1, vcc_lo
	v_cmp_lt_i32_e32 vcc_lo, 5, v11
	v_lshl_or_b32 v2, v2, 9, 0x7c00
	v_lshl_or_b32 v4, v4, 9, 0x7c00
	s_or_b32 vcc_lo, s0, vcc_lo
	v_add_co_ci_u32_e32 v9, vcc_lo, 0, v9, vcc_lo
	s_or_b32 vcc_lo, s2, s1
	v_add_co_ci_u32_e32 v7, vcc_lo, 0, v7, vcc_lo
	v_cmp_gt_i32_e32 vcc_lo, 31, v8
	v_cndmask_b32_e32 v9, 0x7c00, v9, vcc_lo
	v_cmp_gt_i32_e32 vcc_lo, 31, v10
	v_cndmask_b32_e32 v7, 0x7c00, v7, vcc_lo
	v_cmp_eq_u32_e32 vcc_lo, 0x40f, v8
	v_cndmask_b32_e32 v2, v9, v2, vcc_lo
	v_cmp_eq_u32_e32 vcc_lo, 0x40f, v10
	v_and_or_b32 v2, 0x8000, v3, v2
	v_cndmask_b32_e32 v4, v7, v4, vcc_lo
	v_add_co_u32 v0, vcc_lo, v0, s8
	v_add_co_ci_u32_e32 v1, vcc_lo, s9, v1, vcc_lo
	v_and_or_b32 v3, 0x8000, v5, v4
	v_and_b32_e32 v2, 0xffff, v2
	v_lshl_or_b32 v2, v3, 16, v2
	s_waitcnt lgkmcnt(0)
	v_lshrrev_b32_e32 v3, 16, v6
	global_store_dword v[0:1], v2, off
	global_load_dword v2, v[24:25], off offset:1200
	s_waitcnt vmcnt(0)
	v_mul_f16_sdwa v4, v3, v2 dst_sel:DWORD dst_unused:UNUSED_PAD src0_sel:DWORD src1_sel:WORD_1
	v_mul_f16_sdwa v5, v6, v2 dst_sel:DWORD dst_unused:UNUSED_PAD src0_sel:DWORD src1_sel:WORD_1
	v_fmac_f16_e32 v4, v6, v2
	v_fma_f16 v2, v2, v3, -v5
	v_cvt_f32_f16_e32 v3, v4
	v_cvt_f32_f16_e32 v4, v2
	v_cvt_f64_f32_e32 v[2:3], v3
	v_cvt_f64_f32_e32 v[4:5], v4
	v_mul_f64 v[2:3], v[2:3], s[4:5]
	v_mul_f64 v[4:5], v[4:5], s[4:5]
	v_and_or_b32 v2, 0x1ff, v3, v2
	v_and_or_b32 v4, 0x1ff, v5, v4
	v_lshrrev_b32_e32 v6, 8, v3
	v_bfe_u32 v7, v3, 20, 11
	v_lshrrev_b32_e32 v8, 8, v5
	v_cmp_ne_u32_e32 vcc_lo, 0, v2
	v_bfe_u32 v9, v5, 20, 11
	v_lshrrev_b32_e32 v3, 16, v3
	v_sub_nc_u32_e32 v10, 0x3f1, v7
	v_add_nc_u32_e32 v7, 0xfffffc10, v7
	v_cndmask_b32_e64 v2, 0, 1, vcc_lo
	v_cmp_ne_u32_e32 vcc_lo, 0, v4
	v_lshrrev_b32_e32 v5, 16, v5
	v_and_or_b32 v2, 0xffe, v6, v2
	v_cndmask_b32_e64 v4, 0, 1, vcc_lo
	v_sub_nc_u32_e32 v6, 0x3f1, v9
	v_add_nc_u32_e32 v9, 0xfffffc10, v9
	v_and_or_b32 v4, 0xffe, v8, v4
	v_med3_i32 v8, v10, 0, 13
	v_or_b32_e32 v10, 0x1000, v2
	v_med3_i32 v6, v6, 0, 13
	v_or_b32_e32 v11, 0x1000, v4
	v_lshrrev_b32_e32 v12, v8, v10
	v_lshrrev_b32_e32 v13, v6, v11
	v_lshlrev_b32_e32 v8, v8, v12
	v_lshlrev_b32_e32 v6, v6, v13
	v_cmp_ne_u32_e32 vcc_lo, v8, v10
	v_lshl_or_b32 v10, v7, 12, v2
	v_cndmask_b32_e64 v8, 0, 1, vcc_lo
	v_cmp_ne_u32_e32 vcc_lo, v6, v11
	v_lshl_or_b32 v11, v9, 12, v4
	v_or_b32_e32 v8, v12, v8
	v_cndmask_b32_e64 v6, 0, 1, vcc_lo
	v_cmp_gt_i32_e32 vcc_lo, 1, v7
	v_or_b32_e32 v6, v13, v6
	v_cndmask_b32_e32 v8, v10, v8, vcc_lo
	v_cmp_gt_i32_e32 vcc_lo, 1, v9
	v_and_b32_e32 v10, 7, v8
	v_cndmask_b32_e32 v6, v11, v6, vcc_lo
	v_cmp_ne_u32_e32 vcc_lo, 0, v2
	v_lshrrev_b32_e32 v8, 2, v8
	v_cmp_eq_u32_e64 s0, 3, v10
	v_and_b32_e32 v11, 7, v6
	v_cndmask_b32_e64 v2, 0, 1, vcc_lo
	v_cmp_ne_u32_e32 vcc_lo, 0, v4
	v_lshrrev_b32_e32 v6, 2, v6
	v_cmp_lt_i32_e64 s1, 5, v11
	v_cmp_eq_u32_e64 s2, 3, v11
	v_cndmask_b32_e64 v4, 0, 1, vcc_lo
	v_cmp_lt_i32_e32 vcc_lo, 5, v10
	v_lshl_or_b32 v2, v2, 9, 0x7c00
	v_lshl_or_b32 v4, v4, 9, 0x7c00
	s_or_b32 vcc_lo, s0, vcc_lo
	v_add_co_ci_u32_e32 v8, vcc_lo, 0, v8, vcc_lo
	s_or_b32 vcc_lo, s2, s1
	v_add_co_ci_u32_e32 v6, vcc_lo, 0, v6, vcc_lo
	v_cmp_gt_i32_e32 vcc_lo, 31, v7
	v_cndmask_b32_e32 v8, 0x7c00, v8, vcc_lo
	v_cmp_gt_i32_e32 vcc_lo, 31, v9
	v_cndmask_b32_e32 v6, 0x7c00, v6, vcc_lo
	v_cmp_eq_u32_e32 vcc_lo, 0x40f, v7
	v_cndmask_b32_e32 v2, v8, v2, vcc_lo
	v_cmp_eq_u32_e32 vcc_lo, 0x40f, v9
	v_and_or_b32 v2, 0x8000, v3, v2
	v_cndmask_b32_e32 v4, v6, v4, vcc_lo
	v_add_co_u32 v0, vcc_lo, v0, s6
	v_add_co_ci_u32_e32 v1, vcc_lo, s7, v1, vcc_lo
	v_and_or_b32 v3, 0x8000, v5, v4
	v_and_b32_e32 v2, 0xffff, v2
	v_lshl_or_b32 v2, v3, 16, v2
	global_store_dword v[0:1], v2, off
.LBB0_39:
	s_endpgm
	.section	.rodata,"a",@progbits
	.p2align	6, 0x0
	.amdhsa_kernel bluestein_single_fwd_len840_dim1_half_op_CI_CI
		.amdhsa_group_segment_fixed_size 3360
		.amdhsa_private_segment_fixed_size 0
		.amdhsa_kernarg_size 104
		.amdhsa_user_sgpr_count 6
		.amdhsa_user_sgpr_private_segment_buffer 1
		.amdhsa_user_sgpr_dispatch_ptr 0
		.amdhsa_user_sgpr_queue_ptr 0
		.amdhsa_user_sgpr_kernarg_segment_ptr 1
		.amdhsa_user_sgpr_dispatch_id 0
		.amdhsa_user_sgpr_flat_scratch_init 0
		.amdhsa_user_sgpr_private_segment_size 0
		.amdhsa_wavefront_size32 1
		.amdhsa_uses_dynamic_stack 0
		.amdhsa_system_sgpr_private_segment_wavefront_offset 0
		.amdhsa_system_sgpr_workgroup_id_x 1
		.amdhsa_system_sgpr_workgroup_id_y 0
		.amdhsa_system_sgpr_workgroup_id_z 0
		.amdhsa_system_sgpr_workgroup_info 0
		.amdhsa_system_vgpr_workitem_id 0
		.amdhsa_next_free_vgpr 158
		.amdhsa_next_free_sgpr 16
		.amdhsa_reserve_vcc 1
		.amdhsa_reserve_flat_scratch 0
		.amdhsa_float_round_mode_32 0
		.amdhsa_float_round_mode_16_64 0
		.amdhsa_float_denorm_mode_32 3
		.amdhsa_float_denorm_mode_16_64 3
		.amdhsa_dx10_clamp 1
		.amdhsa_ieee_mode 1
		.amdhsa_fp16_overflow 0
		.amdhsa_workgroup_processor_mode 1
		.amdhsa_memory_ordered 1
		.amdhsa_forward_progress 0
		.amdhsa_shared_vgpr_count 0
		.amdhsa_exception_fp_ieee_invalid_op 0
		.amdhsa_exception_fp_denorm_src 0
		.amdhsa_exception_fp_ieee_div_zero 0
		.amdhsa_exception_fp_ieee_overflow 0
		.amdhsa_exception_fp_ieee_underflow 0
		.amdhsa_exception_fp_ieee_inexact 0
		.amdhsa_exception_int_div_zero 0
	.end_amdhsa_kernel
	.text
.Lfunc_end0:
	.size	bluestein_single_fwd_len840_dim1_half_op_CI_CI, .Lfunc_end0-bluestein_single_fwd_len840_dim1_half_op_CI_CI
                                        ; -- End function
	.section	.AMDGPU.csdata,"",@progbits
; Kernel info:
; codeLenInByte = 28340
; NumSgprs: 18
; NumVgprs: 158
; ScratchSize: 0
; MemoryBound: 0
; FloatMode: 240
; IeeeMode: 1
; LDSByteSize: 3360 bytes/workgroup (compile time only)
; SGPRBlocks: 2
; VGPRBlocks: 19
; NumSGPRsForWavesPerEU: 18
; NumVGPRsForWavesPerEU: 158
; Occupancy: 6
; WaveLimiterHint : 1
; COMPUTE_PGM_RSRC2:SCRATCH_EN: 0
; COMPUTE_PGM_RSRC2:USER_SGPR: 6
; COMPUTE_PGM_RSRC2:TRAP_HANDLER: 0
; COMPUTE_PGM_RSRC2:TGID_X_EN: 1
; COMPUTE_PGM_RSRC2:TGID_Y_EN: 0
; COMPUTE_PGM_RSRC2:TGID_Z_EN: 0
; COMPUTE_PGM_RSRC2:TIDIG_COMP_CNT: 0
	.text
	.p2alignl 6, 3214868480
	.fill 48, 4, 3214868480
	.type	__hip_cuid_1edce661fce42657,@object ; @__hip_cuid_1edce661fce42657
	.section	.bss,"aw",@nobits
	.globl	__hip_cuid_1edce661fce42657
__hip_cuid_1edce661fce42657:
	.byte	0                               ; 0x0
	.size	__hip_cuid_1edce661fce42657, 1

	.ident	"AMD clang version 19.0.0git (https://github.com/RadeonOpenCompute/llvm-project roc-6.4.0 25133 c7fe45cf4b819c5991fe208aaa96edf142730f1d)"
	.section	".note.GNU-stack","",@progbits
	.addrsig
	.addrsig_sym __hip_cuid_1edce661fce42657
	.amdgpu_metadata
---
amdhsa.kernels:
  - .args:
      - .actual_access:  read_only
        .address_space:  global
        .offset:         0
        .size:           8
        .value_kind:     global_buffer
      - .actual_access:  read_only
        .address_space:  global
        .offset:         8
        .size:           8
        .value_kind:     global_buffer
      - .actual_access:  read_only
        .address_space:  global
        .offset:         16
        .size:           8
        .value_kind:     global_buffer
      - .actual_access:  read_only
        .address_space:  global
        .offset:         24
        .size:           8
        .value_kind:     global_buffer
      - .actual_access:  read_only
        .address_space:  global
        .offset:         32
        .size:           8
        .value_kind:     global_buffer
      - .offset:         40
        .size:           8
        .value_kind:     by_value
      - .address_space:  global
        .offset:         48
        .size:           8
        .value_kind:     global_buffer
      - .address_space:  global
        .offset:         56
        .size:           8
        .value_kind:     global_buffer
      - .address_space:  global
        .offset:         64
        .size:           8
        .value_kind:     global_buffer
      - .address_space:  global
        .offset:         72
        .size:           8
        .value_kind:     global_buffer
      - .offset:         80
        .size:           4
        .value_kind:     by_value
      - .address_space:  global
        .offset:         88
        .size:           8
        .value_kind:     global_buffer
      - .address_space:  global
        .offset:         96
        .size:           8
        .value_kind:     global_buffer
    .group_segment_fixed_size: 3360
    .kernarg_segment_align: 8
    .kernarg_segment_size: 104
    .language:       OpenCL C
    .language_version:
      - 2
      - 0
    .max_flat_workgroup_size: 56
    .name:           bluestein_single_fwd_len840_dim1_half_op_CI_CI
    .private_segment_fixed_size: 0
    .sgpr_count:     18
    .sgpr_spill_count: 0
    .symbol:         bluestein_single_fwd_len840_dim1_half_op_CI_CI.kd
    .uniform_work_group_size: 1
    .uses_dynamic_stack: false
    .vgpr_count:     158
    .vgpr_spill_count: 0
    .wavefront_size: 32
    .workgroup_processor_mode: 1
amdhsa.target:   amdgcn-amd-amdhsa--gfx1030
amdhsa.version:
  - 1
  - 2
...

	.end_amdgpu_metadata
